;; amdgpu-corpus repo=ROCm/rocFFT kind=compiled arch=gfx1201 opt=O3
	.text
	.amdgcn_target "amdgcn-amd-amdhsa--gfx1201"
	.amdhsa_code_object_version 6
	.protected	fft_rtc_fwd_len2016_factors_2_2_2_2_2_3_3_7_wgs_224_tpt_112_halfLds_dp_ip_CI_unitstride_sbrr_R2C_dirReg ; -- Begin function fft_rtc_fwd_len2016_factors_2_2_2_2_2_3_3_7_wgs_224_tpt_112_halfLds_dp_ip_CI_unitstride_sbrr_R2C_dirReg
	.globl	fft_rtc_fwd_len2016_factors_2_2_2_2_2_3_3_7_wgs_224_tpt_112_halfLds_dp_ip_CI_unitstride_sbrr_R2C_dirReg
	.p2align	8
	.type	fft_rtc_fwd_len2016_factors_2_2_2_2_2_3_3_7_wgs_224_tpt_112_halfLds_dp_ip_CI_unitstride_sbrr_R2C_dirReg,@function
fft_rtc_fwd_len2016_factors_2_2_2_2_2_3_3_7_wgs_224_tpt_112_halfLds_dp_ip_CI_unitstride_sbrr_R2C_dirReg: ; @fft_rtc_fwd_len2016_factors_2_2_2_2_2_3_3_7_wgs_224_tpt_112_halfLds_dp_ip_CI_unitstride_sbrr_R2C_dirReg
; %bb.0:
	s_clause 0x2
	s_load_b128 s[4:7], s[0:1], 0x0
	s_load_b64 s[8:9], s[0:1], 0x50
	s_load_b64 s[10:11], s[0:1], 0x18
	v_mul_u32_u24_e32 v1, 0x24a, v0
	v_mov_b32_e32 v3, 0
	s_delay_alu instid0(VALU_DEP_2) | instskip(SKIP_2) | instid1(VALU_DEP_4)
	v_lshrrev_b32_e32 v9, 16, v1
	v_mov_b32_e32 v1, 0
	v_mov_b32_e32 v2, 0
	;; [unrolled: 1-line block ×3, first 2 shown]
	s_delay_alu instid0(VALU_DEP_4) | instskip(SKIP_2) | instid1(VALU_DEP_1)
	v_lshl_add_u32 v5, ttmp9, 1, v9
	s_wait_kmcnt 0x0
	v_cmp_lt_u64_e64 s2, s[6:7], 2
	s_and_b32 vcc_lo, exec_lo, s2
	s_cbranch_vccnz .LBB0_8
; %bb.1:
	s_load_b64 s[2:3], s[0:1], 0x10
	v_mov_b32_e32 v1, 0
	v_mov_b32_e32 v2, 0
	s_add_nc_u64 s[12:13], s[10:11], 8
	s_mov_b64 s[14:15], 1
	s_wait_kmcnt 0x0
	s_add_nc_u64 s[16:17], s[2:3], 8
	s_mov_b32 s3, 0
.LBB0_2:                                ; =>This Inner Loop Header: Depth=1
	s_load_b64 s[18:19], s[16:17], 0x0
                                        ; implicit-def: $vgpr7_vgpr8
	s_mov_b32 s2, exec_lo
	s_wait_kmcnt 0x0
	v_or_b32_e32 v4, s19, v6
	s_delay_alu instid0(VALU_DEP_1)
	v_cmpx_ne_u64_e32 0, v[3:4]
	s_wait_alu 0xfffe
	s_xor_b32 s20, exec_lo, s2
	s_cbranch_execz .LBB0_4
; %bb.3:                                ;   in Loop: Header=BB0_2 Depth=1
	s_cvt_f32_u32 s2, s18
	s_cvt_f32_u32 s21, s19
	s_sub_nc_u64 s[24:25], 0, s[18:19]
	s_wait_alu 0xfffe
	s_delay_alu instid0(SALU_CYCLE_1) | instskip(SKIP_1) | instid1(SALU_CYCLE_2)
	s_fmamk_f32 s2, s21, 0x4f800000, s2
	s_wait_alu 0xfffe
	v_s_rcp_f32 s2, s2
	s_delay_alu instid0(TRANS32_DEP_1) | instskip(SKIP_1) | instid1(SALU_CYCLE_2)
	s_mul_f32 s2, s2, 0x5f7ffffc
	s_wait_alu 0xfffe
	s_mul_f32 s21, s2, 0x2f800000
	s_wait_alu 0xfffe
	s_delay_alu instid0(SALU_CYCLE_2) | instskip(SKIP_1) | instid1(SALU_CYCLE_2)
	s_trunc_f32 s21, s21
	s_wait_alu 0xfffe
	s_fmamk_f32 s2, s21, 0xcf800000, s2
	s_cvt_u32_f32 s23, s21
	s_wait_alu 0xfffe
	s_delay_alu instid0(SALU_CYCLE_1) | instskip(SKIP_1) | instid1(SALU_CYCLE_2)
	s_cvt_u32_f32 s22, s2
	s_wait_alu 0xfffe
	s_mul_u64 s[26:27], s[24:25], s[22:23]
	s_wait_alu 0xfffe
	s_mul_hi_u32 s29, s22, s27
	s_mul_i32 s28, s22, s27
	s_mul_hi_u32 s2, s22, s26
	s_mul_i32 s30, s23, s26
	s_wait_alu 0xfffe
	s_add_nc_u64 s[28:29], s[2:3], s[28:29]
	s_mul_hi_u32 s21, s23, s26
	s_mul_hi_u32 s31, s23, s27
	s_add_co_u32 s2, s28, s30
	s_wait_alu 0xfffe
	s_add_co_ci_u32 s2, s29, s21
	s_mul_i32 s26, s23, s27
	s_add_co_ci_u32 s27, s31, 0
	s_wait_alu 0xfffe
	s_add_nc_u64 s[26:27], s[2:3], s[26:27]
	s_wait_alu 0xfffe
	v_add_co_u32 v4, s2, s22, s26
	s_delay_alu instid0(VALU_DEP_1) | instskip(SKIP_1) | instid1(VALU_DEP_1)
	s_cmp_lg_u32 s2, 0
	s_add_co_ci_u32 s23, s23, s27
	v_readfirstlane_b32 s22, v4
	s_wait_alu 0xfffe
	s_delay_alu instid0(VALU_DEP_1)
	s_mul_u64 s[24:25], s[24:25], s[22:23]
	s_wait_alu 0xfffe
	s_mul_hi_u32 s27, s22, s25
	s_mul_i32 s26, s22, s25
	s_mul_hi_u32 s2, s22, s24
	s_mul_i32 s28, s23, s24
	s_wait_alu 0xfffe
	s_add_nc_u64 s[26:27], s[2:3], s[26:27]
	s_mul_hi_u32 s21, s23, s24
	s_mul_hi_u32 s22, s23, s25
	s_wait_alu 0xfffe
	s_add_co_u32 s2, s26, s28
	s_add_co_ci_u32 s2, s27, s21
	s_mul_i32 s24, s23, s25
	s_add_co_ci_u32 s25, s22, 0
	s_wait_alu 0xfffe
	s_add_nc_u64 s[24:25], s[2:3], s[24:25]
	s_wait_alu 0xfffe
	v_add_co_u32 v4, s2, v4, s24
	s_delay_alu instid0(VALU_DEP_1) | instskip(SKIP_1) | instid1(VALU_DEP_1)
	s_cmp_lg_u32 s2, 0
	s_add_co_ci_u32 s2, s23, s25
	v_mul_hi_u32 v14, v5, v4
	s_wait_alu 0xfffe
	v_mad_co_u64_u32 v[7:8], null, v5, s2, 0
	v_mad_co_u64_u32 v[10:11], null, v6, v4, 0
	;; [unrolled: 1-line block ×3, first 2 shown]
	s_delay_alu instid0(VALU_DEP_3) | instskip(SKIP_1) | instid1(VALU_DEP_4)
	v_add_co_u32 v4, vcc_lo, v14, v7
	s_wait_alu 0xfffd
	v_add_co_ci_u32_e32 v7, vcc_lo, 0, v8, vcc_lo
	s_delay_alu instid0(VALU_DEP_2) | instskip(SKIP_1) | instid1(VALU_DEP_2)
	v_add_co_u32 v4, vcc_lo, v4, v10
	s_wait_alu 0xfffd
	v_add_co_ci_u32_e32 v4, vcc_lo, v7, v11, vcc_lo
	s_wait_alu 0xfffd
	v_add_co_ci_u32_e32 v7, vcc_lo, 0, v13, vcc_lo
	s_delay_alu instid0(VALU_DEP_2) | instskip(SKIP_1) | instid1(VALU_DEP_2)
	v_add_co_u32 v4, vcc_lo, v4, v12
	s_wait_alu 0xfffd
	v_add_co_ci_u32_e32 v10, vcc_lo, 0, v7, vcc_lo
	s_delay_alu instid0(VALU_DEP_2) | instskip(SKIP_1) | instid1(VALU_DEP_3)
	v_mul_lo_u32 v11, s19, v4
	v_mad_co_u64_u32 v[7:8], null, s18, v4, 0
	v_mul_lo_u32 v12, s18, v10
	s_delay_alu instid0(VALU_DEP_2) | instskip(NEXT) | instid1(VALU_DEP_2)
	v_sub_co_u32 v7, vcc_lo, v5, v7
	v_add3_u32 v8, v8, v12, v11
	s_delay_alu instid0(VALU_DEP_1) | instskip(SKIP_1) | instid1(VALU_DEP_1)
	v_sub_nc_u32_e32 v11, v6, v8
	s_wait_alu 0xfffd
	v_subrev_co_ci_u32_e64 v11, s2, s19, v11, vcc_lo
	v_add_co_u32 v12, s2, v4, 2
	s_wait_alu 0xf1ff
	v_add_co_ci_u32_e64 v13, s2, 0, v10, s2
	v_sub_co_u32 v14, s2, v7, s18
	v_sub_co_ci_u32_e32 v8, vcc_lo, v6, v8, vcc_lo
	s_wait_alu 0xf1ff
	v_subrev_co_ci_u32_e64 v11, s2, 0, v11, s2
	s_delay_alu instid0(VALU_DEP_3) | instskip(NEXT) | instid1(VALU_DEP_3)
	v_cmp_le_u32_e32 vcc_lo, s18, v14
	v_cmp_eq_u32_e64 s2, s19, v8
	s_wait_alu 0xfffd
	v_cndmask_b32_e64 v14, 0, -1, vcc_lo
	v_cmp_le_u32_e32 vcc_lo, s19, v11
	s_wait_alu 0xfffd
	v_cndmask_b32_e64 v15, 0, -1, vcc_lo
	v_cmp_le_u32_e32 vcc_lo, s18, v7
	;; [unrolled: 3-line block ×3, first 2 shown]
	s_wait_alu 0xfffd
	v_cndmask_b32_e64 v16, 0, -1, vcc_lo
	v_cmp_eq_u32_e32 vcc_lo, s19, v11
	s_wait_alu 0xf1ff
	s_delay_alu instid0(VALU_DEP_2)
	v_cndmask_b32_e64 v7, v16, v7, s2
	s_wait_alu 0xfffd
	v_cndmask_b32_e32 v11, v15, v14, vcc_lo
	v_add_co_u32 v14, vcc_lo, v4, 1
	s_wait_alu 0xfffd
	v_add_co_ci_u32_e32 v15, vcc_lo, 0, v10, vcc_lo
	s_delay_alu instid0(VALU_DEP_3) | instskip(SKIP_1) | instid1(VALU_DEP_2)
	v_cmp_ne_u32_e32 vcc_lo, 0, v11
	s_wait_alu 0xfffd
	v_dual_cndmask_b32 v8, v15, v13 :: v_dual_cndmask_b32 v11, v14, v12
	v_cmp_ne_u32_e32 vcc_lo, 0, v7
	s_wait_alu 0xfffd
	s_delay_alu instid0(VALU_DEP_2)
	v_dual_cndmask_b32 v8, v10, v8 :: v_dual_cndmask_b32 v7, v4, v11
.LBB0_4:                                ;   in Loop: Header=BB0_2 Depth=1
	s_wait_alu 0xfffe
	s_and_not1_saveexec_b32 s2, s20
	s_cbranch_execz .LBB0_6
; %bb.5:                                ;   in Loop: Header=BB0_2 Depth=1
	v_cvt_f32_u32_e32 v4, s18
	s_sub_co_i32 s20, 0, s18
	s_delay_alu instid0(VALU_DEP_1) | instskip(NEXT) | instid1(TRANS32_DEP_1)
	v_rcp_iflag_f32_e32 v4, v4
	v_mul_f32_e32 v4, 0x4f7ffffe, v4
	s_delay_alu instid0(VALU_DEP_1) | instskip(SKIP_1) | instid1(VALU_DEP_1)
	v_cvt_u32_f32_e32 v4, v4
	s_wait_alu 0xfffe
	v_mul_lo_u32 v7, s20, v4
	s_delay_alu instid0(VALU_DEP_1) | instskip(NEXT) | instid1(VALU_DEP_1)
	v_mul_hi_u32 v7, v4, v7
	v_add_nc_u32_e32 v4, v4, v7
	s_delay_alu instid0(VALU_DEP_1) | instskip(NEXT) | instid1(VALU_DEP_1)
	v_mul_hi_u32 v4, v5, v4
	v_mul_lo_u32 v7, v4, s18
	v_add_nc_u32_e32 v8, 1, v4
	s_delay_alu instid0(VALU_DEP_2) | instskip(NEXT) | instid1(VALU_DEP_1)
	v_sub_nc_u32_e32 v7, v5, v7
	v_subrev_nc_u32_e32 v10, s18, v7
	v_cmp_le_u32_e32 vcc_lo, s18, v7
	s_wait_alu 0xfffd
	s_delay_alu instid0(VALU_DEP_2) | instskip(NEXT) | instid1(VALU_DEP_1)
	v_dual_cndmask_b32 v7, v7, v10 :: v_dual_cndmask_b32 v4, v4, v8
	v_cmp_le_u32_e32 vcc_lo, s18, v7
	s_delay_alu instid0(VALU_DEP_2) | instskip(SKIP_1) | instid1(VALU_DEP_1)
	v_add_nc_u32_e32 v8, 1, v4
	s_wait_alu 0xfffd
	v_dual_cndmask_b32 v7, v4, v8 :: v_dual_mov_b32 v8, v3
.LBB0_6:                                ;   in Loop: Header=BB0_2 Depth=1
	s_wait_alu 0xfffe
	s_or_b32 exec_lo, exec_lo, s2
	s_load_b64 s[20:21], s[12:13], 0x0
	s_delay_alu instid0(VALU_DEP_1)
	v_mul_lo_u32 v4, v8, s18
	v_mul_lo_u32 v12, v7, s19
	v_mad_co_u64_u32 v[10:11], null, v7, s18, 0
	s_add_nc_u64 s[14:15], s[14:15], 1
	s_add_nc_u64 s[12:13], s[12:13], 8
	s_wait_alu 0xfffe
	v_cmp_ge_u64_e64 s2, s[14:15], s[6:7]
	s_add_nc_u64 s[16:17], s[16:17], 8
	s_delay_alu instid0(VALU_DEP_2) | instskip(NEXT) | instid1(VALU_DEP_3)
	v_add3_u32 v4, v11, v12, v4
	v_sub_co_u32 v5, vcc_lo, v5, v10
	s_wait_alu 0xfffd
	s_delay_alu instid0(VALU_DEP_2) | instskip(SKIP_3) | instid1(VALU_DEP_2)
	v_sub_co_ci_u32_e32 v4, vcc_lo, v6, v4, vcc_lo
	s_and_b32 vcc_lo, exec_lo, s2
	s_wait_kmcnt 0x0
	v_mul_lo_u32 v6, s21, v5
	v_mul_lo_u32 v4, s20, v4
	v_mad_co_u64_u32 v[1:2], null, s20, v5, v[1:2]
	s_delay_alu instid0(VALU_DEP_1)
	v_add3_u32 v2, v6, v2, v4
	s_wait_alu 0xfffe
	s_cbranch_vccnz .LBB0_9
; %bb.7:                                ;   in Loop: Header=BB0_2 Depth=1
	v_dual_mov_b32 v5, v7 :: v_dual_mov_b32 v6, v8
	s_branch .LBB0_2
.LBB0_8:
	v_dual_mov_b32 v8, v6 :: v_dual_mov_b32 v7, v5
.LBB0_9:
	s_lshl_b64 s[2:3], s[6:7], 3
	v_mul_hi_u32 v3, 0x2492493, v0
	s_wait_alu 0xfffe
	s_add_nc_u64 s[2:3], s[10:11], s[2:3]
	s_load_b64 s[6:7], s[0:1], 0x20
	s_load_b64 s[2:3], s[2:3], 0x0
	v_and_b32_e32 v4, 1, v9
	s_delay_alu instid0(VALU_DEP_2) | instskip(NEXT) | instid1(VALU_DEP_2)
	v_mul_u32_u24_e32 v3, 0x70, v3
	v_cmp_eq_u32_e64 s0, 1, v4
	s_delay_alu instid0(VALU_DEP_2) | instskip(NEXT) | instid1(VALU_DEP_1)
	v_sub_nc_u32_e32 v84, v0, v3
	v_add_nc_u32_e32 v86, 0x70, v84
	v_add_nc_u32_e32 v100, 0xe0, v84
	;; [unrolled: 1-line block ×4, first 2 shown]
	s_wait_kmcnt 0x0
	v_cmp_gt_u64_e32 vcc_lo, s[6:7], v[7:8]
	v_mul_lo_u32 v3, s2, v8
	v_mul_lo_u32 v4, s3, v7
	v_mad_co_u64_u32 v[0:1], null, s2, v7, v[1:2]
	v_cmp_le_u64_e64 s1, s[6:7], v[7:8]
	v_add_nc_u32_e32 v96, 0x230, v84
	v_add_nc_u32_e32 v94, 0x2a0, v84
	;; [unrolled: 1-line block ×3, first 2 shown]
	v_or_b32_e32 v88, 0x380, v84
	v_add3_u32 v1, v4, v1, v3
	s_and_saveexec_b32 s2, s1
	s_wait_alu 0xfffe
	s_xor_b32 s1, exec_lo, s2
; %bb.10:
	v_add_nc_u32_e32 v86, 0x70, v84
	v_add_nc_u32_e32 v100, 0xe0, v84
	;; [unrolled: 1-line block ×7, first 2 shown]
	v_or_b32_e32 v88, 0x380, v84
; %bb.11:
	s_wait_alu 0xfffe
	s_or_saveexec_b32 s1, s1
	v_cndmask_b32_e64 v2, 0, 0x7e1, s0
	v_lshlrev_b64_e32 v[90:91], 4, v[0:1]
	v_lshlrev_b32_e32 v87, 4, v84
	s_delay_alu instid0(VALU_DEP_3)
	v_lshlrev_b32_e32 v56, 4, v2
	s_wait_alu 0xfffe
	s_xor_b32 exec_lo, exec_lo, s1
	s_cbranch_execz .LBB0_13
; %bb.12:
	v_mov_b32_e32 v85, 0
	v_add_co_u32 v2, s0, s8, v90
	s_wait_alu 0xf1ff
	v_add_co_ci_u32_e64 v3, s0, s9, v91, s0
	s_delay_alu instid0(VALU_DEP_3) | instskip(SKIP_1) | instid1(VALU_DEP_2)
	v_lshlrev_b64_e32 v[0:1], 4, v[84:85]
	v_add3_u32 v73, 0, v56, v87
	v_add_co_u32 v69, s0, v2, v0
	s_wait_alu 0xf1ff
	s_delay_alu instid0(VALU_DEP_3)
	v_add_co_ci_u32_e64 v70, s0, v3, v1, s0
	s_clause 0x11
	global_load_b128 v[0:3], v[69:70], off
	global_load_b128 v[4:7], v[69:70], off offset:1792
	global_load_b128 v[8:11], v[69:70], off offset:3584
	;; [unrolled: 1-line block ×17, first 2 shown]
	s_wait_loadcnt 0x11
	ds_store_b128 v73, v[0:3]
	s_wait_loadcnt 0x10
	ds_store_b128 v73, v[4:7] offset:1792
	s_wait_loadcnt 0xf
	ds_store_b128 v73, v[8:11] offset:3584
	;; [unrolled: 2-line block ×17, first 2 shown]
.LBB0_13:
	s_or_b32 exec_lo, exec_lo, s1
	v_add_nc_u32_e32 v104, 0, v56
	v_add3_u32 v85, 0, v87, v56
	global_wb scope:SCOPE_SE
	s_wait_dscnt 0x0
	s_barrier_signal -1
	s_barrier_wait -1
	v_add_nc_u32_e32 v103, v104, v87
	global_inv scope:SCOPE_SE
	v_lshl_add_u32 v77, v99, 5, v104
	v_lshl_add_u32 v83, v98, 5, v104
	ds_load_b128 v[0:3], v85 offset:16128
	ds_load_b128 v[4:7], v103
	ds_load_b128 v[8:11], v85 offset:17920
	ds_load_b128 v[12:15], v85 offset:1792
	;; [unrolled: 1-line block ×16, first 2 shown]
	v_lshl_add_u32 v97, v96, 5, v104
	v_lshl_add_u32 v125, v94, 5, v104
	;; [unrolled: 1-line block ×3, first 2 shown]
	s_wait_dscnt 0x10
	v_add_f64_e64 v[0:1], v[4:5], -v[0:1]
	v_add_f64_e64 v[2:3], v[6:7], -v[2:3]
	s_wait_dscnt 0xe
	v_add_f64_e64 v[8:9], v[12:13], -v[8:9]
	v_add_f64_e64 v[10:11], v[14:15], -v[10:11]
	;; [unrolled: 3-line block ×9, first 2 shown]
	v_lshl_add_u32 v127, v88, 5, v104
	global_wb scope:SCOPE_SE
	s_barrier_signal -1
	s_barrier_wait -1
	global_inv scope:SCOPE_SE
	v_lshl_add_u32 v95, v86, 4, v104
	v_lshl_add_u32 v89, v100, 4, v104
	v_lshlrev_b32_e32 v128, 4, v96
	v_lshl_add_u32 v93, v99, 4, v104
	v_lshlrev_b32_e32 v129, 4, v94
	v_lshlrev_b32_e32 v130, 4, v92
	s_mov_b32 s2, 0xe8584caa
	s_mov_b32 s3, 0x3febb67a
	s_mov_b32 s7, 0xbfebb67a
	s_wait_alu 0xfffe
	s_mov_b32 s6, s2
	v_cmp_gt_u32_e64 s0, 0x60, v84
	v_and_b32_e32 v155, 0xffff, v100
	v_fma_f64 v[73:74], v[4:5], 2.0, -v[0:1]
	v_fma_f64 v[75:76], v[6:7], 2.0, -v[2:3]
	;; [unrolled: 1-line block ×18, first 2 shown]
	v_and_b32_e32 v4, 1, v84
	v_lshl_add_u32 v5, v84, 5, v104
	v_lshl_add_u32 v6, v86, 5, v104
	;; [unrolled: 1-line block ×3, first 2 shown]
	ds_store_b128 v5, v[73:76]
	ds_store_b128 v5, v[0:3] offset:16
	ds_store_b128 v6, v[12:15]
	ds_store_b128 v6, v[8:11] offset:16
	;; [unrolled: 2-line block ×9, first 2 shown]
	v_lshlrev_b32_e32 v78, 4, v4
	global_wb scope:SCOPE_SE
	s_wait_dscnt 0x0
	s_barrier_signal -1
	s_barrier_wait -1
	global_inv scope:SCOPE_SE
	global_load_b128 v[5:8], v78, s[4:5]
	ds_load_b128 v[9:12], v85 offset:16128
	ds_load_b128 v[13:16], v85 offset:17920
	;; [unrolled: 1-line block ×9, first 2 shown]
	ds_load_b128 v[0:3], v103
	v_lshlrev_b32_e32 v55, 4, v98
	s_wait_loadcnt_dscnt 0x9
	v_mul_f64_e32 v[45:46], v[11:12], v[7:8]
	v_mul_f64_e32 v[47:48], v[9:10], v[7:8]
	s_wait_dscnt 0x8
	v_mul_f64_e32 v[49:50], v[15:16], v[7:8]
	v_mul_f64_e32 v[51:52], v[13:14], v[7:8]
	s_wait_dscnt 0x7
	;; [unrolled: 3-line block ×8, first 2 shown]
	v_mul_f64_e32 v[79:80], v[43:44], v[7:8]
	v_mul_f64_e32 v[7:8], v[41:42], v[7:8]
	v_fma_f64 v[9:10], v[9:10], v[5:6], -v[45:46]
	v_fma_f64 v[11:12], v[11:12], v[5:6], v[47:48]
	v_fma_f64 v[13:14], v[13:14], v[5:6], -v[49:50]
	v_fma_f64 v[15:16], v[15:16], v[5:6], v[51:52]
	;; [unrolled: 2-line block ×9, first 2 shown]
	ds_load_b128 v[17:20], v95
	v_sub_nc_u32_e32 v57, v83, v55
	ds_load_b128 v[21:24], v89
	ds_load_b128 v[25:28], v93
	v_sub_nc_u32_e32 v58, v97, v128
	v_lshlrev_b32_e32 v7, 4, v88
	ds_load_b128 v[29:32], v57
	v_sub_nc_u32_e32 v60, v125, v129
	v_sub_nc_u32_e32 v61, v126, v130
	ds_load_b128 v[33:36], v58
	v_sub_nc_u32_e32 v59, v127, v7
	ds_load_b128 v[37:40], v60
	ds_load_b128 v[41:44], v61
	;; [unrolled: 1-line block ×3, first 2 shown]
	v_lshlrev_b32_e32 v8, 1, v100
	global_wb scope:SCOPE_SE
	s_wait_dscnt 0x0
	s_barrier_signal -1
	s_barrier_wait -1
	global_inv scope:SCOPE_SE
	v_add_f64_e64 v[49:50], v[0:1], -v[9:10]
	v_add_f64_e64 v[51:52], v[2:3], -v[11:12]
	;; [unrolled: 1-line block ×18, first 2 shown]
	v_lshlrev_b32_e32 v15, 1, v84
	v_lshlrev_b32_e32 v16, 1, v86
	;; [unrolled: 1-line block ×8, first 2 shown]
	v_and_b32_e32 v5, 3, v84
	v_and_or_b32 v6, 0xfc, v15, v4
	v_and_or_b32 v7, 0x1fc, v16, v4
	v_and_or_b32 v53, 0x3fc, v8, v4
	v_and_or_b32 v54, 0x3fc, v9, v4
	v_and_or_b32 v55, 0x7fc, v10, v4
	v_and_or_b32 v82, 0x5fc, v11, v4
	v_and_or_b32 v83, 0x7fc, v12, v4
	v_and_or_b32 v97, 0x7fc, v13, v4
	v_and_or_b32 v4, 0x7fc, v14, v4
	v_lshlrev_b32_e32 v101, 4, v5
	v_lshl_add_u32 v6, v6, 4, v104
	v_fma_f64 v[0:1], v[0:1], 2.0, -v[49:50]
	v_fma_f64 v[2:3], v[2:3], 2.0, -v[51:52]
	;; [unrolled: 1-line block ×18, first 2 shown]
	v_lshl_add_u32 v7, v7, 4, v104
	v_lshl_add_u32 v53, v53, 4, v104
	;; [unrolled: 1-line block ×8, first 2 shown]
	ds_store_b128 v6, v[0:3]
	ds_store_b128 v6, v[49:52] offset:32
	ds_store_b128 v7, v[17:20]
	ds_store_b128 v7, v[62:65] offset:32
	;; [unrolled: 2-line block ×9, first 2 shown]
	global_wb scope:SCOPE_SE
	s_wait_dscnt 0x0
	s_barrier_signal -1
	s_barrier_wait -1
	global_inv scope:SCOPE_SE
	global_load_b128 v[0:3], v101, s[4:5] offset:32
	ds_load_b128 v[17:20], v85 offset:16128
	ds_load_b128 v[21:24], v85 offset:17920
	;; [unrolled: 1-line block ×9, first 2 shown]
	ds_load_b128 v[62:65], v103
	v_and_or_b32 v55, 0x7f8, v10, v5
	v_and_or_b32 v97, 0x7f8, v13, v5
	s_delay_alu instid0(VALU_DEP_2) | instskip(NEXT) | instid1(VALU_DEP_2)
	v_lshl_add_u32 v55, v55, 4, v104
	v_lshl_add_u32 v97, v97, 4, v104
	s_wait_loadcnt_dscnt 0x9
	v_mul_f64_e32 v[6:7], v[19:20], v[2:3]
	v_mul_f64_e32 v[53:54], v[17:18], v[2:3]
	s_wait_dscnt 0x8
	v_mul_f64_e32 v[66:67], v[23:24], v[2:3]
	v_mul_f64_e32 v[68:69], v[21:22], v[2:3]
	s_wait_dscnt 0x7
	v_mul_f64_e32 v[70:71], v[27:28], v[2:3]
	v_mul_f64_e32 v[72:73], v[25:26], v[2:3]
	s_wait_dscnt 0x6
	v_mul_f64_e32 v[74:75], v[31:32], v[2:3]
	v_mul_f64_e32 v[76:77], v[29:30], v[2:3]
	s_wait_dscnt 0x5
	v_mul_f64_e32 v[78:79], v[35:36], v[2:3]
	v_mul_f64_e32 v[80:81], v[33:34], v[2:3]
	s_wait_dscnt 0x4
	v_mul_f64_e32 v[82:83], v[39:40], v[2:3]
	v_mul_f64_e32 v[101:102], v[37:38], v[2:3]
	s_wait_dscnt 0x3
	v_mul_f64_e32 v[105:106], v[43:44], v[2:3]
	v_mul_f64_e32 v[107:108], v[41:42], v[2:3]
	s_wait_dscnt 0x2
	v_mul_f64_e32 v[109:110], v[47:48], v[2:3]
	v_mul_f64_e32 v[111:112], v[45:46], v[2:3]
	s_wait_dscnt 0x1
	v_mul_f64_e32 v[113:114], v[51:52], v[2:3]
	v_mul_f64_e32 v[2:3], v[49:50], v[2:3]
	v_fma_f64 v[6:7], v[17:18], v[0:1], -v[6:7]
	v_fma_f64 v[53:54], v[19:20], v[0:1], v[53:54]
	v_fma_f64 v[66:67], v[21:22], v[0:1], -v[66:67]
	v_fma_f64 v[68:69], v[23:24], v[0:1], v[68:69]
	;; [unrolled: 2-line block ×9, first 2 shown]
	ds_load_b128 v[1:4], v95
	ds_load_b128 v[17:20], v89
	;; [unrolled: 1-line block ×8, first 2 shown]
	v_and_b32_e32 v0, 7, v84
	global_wb scope:SCOPE_SE
	s_wait_dscnt 0x0
	s_barrier_signal -1
	s_barrier_wait -1
	global_inv scope:SCOPE_SE
	v_add_f64_e64 v[45:46], v[62:63], -v[6:7]
	v_add_f64_e64 v[47:48], v[64:65], -v[53:54]
	;; [unrolled: 1-line block ×18, first 2 shown]
	v_and_or_b32 v6, 0xf8, v15, v5
	v_and_or_b32 v7, 0x1f8, v16, v5
	;; [unrolled: 1-line block ×7, first 2 shown]
	v_lshlrev_b32_e32 v101, 4, v0
	v_lshl_add_u32 v6, v6, 4, v104
	v_lshl_add_u32 v7, v7, 4, v104
	;; [unrolled: 1-line block ×7, first 2 shown]
	v_fma_f64 v[62:63], v[62:63], 2.0, -v[45:46]
	v_fma_f64 v[64:65], v[64:65], 2.0, -v[47:48]
	;; [unrolled: 1-line block ×18, first 2 shown]
	ds_store_b128 v6, v[62:65]
	ds_store_b128 v6, v[45:48] offset:64
	ds_store_b128 v7, v[1:4]
	ds_store_b128 v7, v[49:52] offset:64
	;; [unrolled: 2-line block ×9, first 2 shown]
	global_wb scope:SCOPE_SE
	s_wait_dscnt 0x0
	s_barrier_signal -1
	s_barrier_wait -1
	global_inv scope:SCOPE_SE
	global_load_b128 v[1:4], v101, s[4:5] offset:96
	ds_load_b128 v[17:20], v85 offset:16128
	ds_load_b128 v[21:24], v85 offset:17920
	;; [unrolled: 1-line block ×9, first 2 shown]
	ds_load_b128 v[62:65], v103
	v_and_or_b32 v7, 0x3f0, v8, v0
	v_and_or_b32 v55, 0x7f0, v10, v0
	;; [unrolled: 1-line block ×3, first 2 shown]
	s_delay_alu instid0(VALU_DEP_3) | instskip(NEXT) | instid1(VALU_DEP_3)
	v_lshl_add_u32 v7, v7, 4, v104
	v_lshl_add_u32 v55, v55, 4, v104
	s_delay_alu instid0(VALU_DEP_3)
	v_lshl_add_u32 v97, v97, 4, v104
	s_wait_loadcnt_dscnt 0x9
	v_mul_f64_e32 v[5:6], v[19:20], v[3:4]
	v_mul_f64_e32 v[53:54], v[17:18], v[3:4]
	s_wait_dscnt 0x8
	v_mul_f64_e32 v[66:67], v[23:24], v[3:4]
	v_mul_f64_e32 v[68:69], v[21:22], v[3:4]
	s_wait_dscnt 0x7
	;; [unrolled: 3-line block ×8, first 2 shown]
	v_mul_f64_e32 v[113:114], v[51:52], v[3:4]
	v_mul_f64_e32 v[3:4], v[49:50], v[3:4]
	v_fma_f64 v[5:6], v[17:18], v[1:2], -v[5:6]
	v_fma_f64 v[53:54], v[19:20], v[1:2], v[53:54]
	v_fma_f64 v[66:67], v[21:22], v[1:2], -v[66:67]
	v_fma_f64 v[68:69], v[23:24], v[1:2], v[68:69]
	;; [unrolled: 2-line block ×9, first 2 shown]
	ds_load_b128 v[1:4], v95
	ds_load_b128 v[18:21], v89
	;; [unrolled: 1-line block ×8, first 2 shown]
	v_and_b32_e32 v17, 15, v84
	global_wb scope:SCOPE_SE
	s_wait_dscnt 0x0
	s_barrier_signal -1
	s_barrier_wait -1
	global_inv scope:SCOPE_SE
	v_and_or_b32 v8, 0x3e0, v8, v17
	v_and_or_b32 v10, 0x7e0, v10, v17
	;; [unrolled: 1-line block ×3, first 2 shown]
	s_delay_alu instid0(VALU_DEP_3) | instskip(NEXT) | instid1(VALU_DEP_3)
	v_lshl_add_u32 v8, v8, 4, v104
	v_lshl_add_u32 v10, v10, 4, v104
	s_delay_alu instid0(VALU_DEP_3)
	v_lshl_add_u32 v13, v13, 4, v104
	v_add_f64_e64 v[46:47], v[62:63], -v[5:6]
	v_add_f64_e64 v[48:49], v[64:65], -v[53:54]
	;; [unrolled: 1-line block ×18, first 2 shown]
	v_and_or_b32 v5, 0xf0, v15, v0
	v_and_or_b32 v6, 0x1f0, v16, v0
	;; [unrolled: 1-line block ×6, first 2 shown]
	v_lshlrev_b32_e32 v101, 4, v17
	v_lshl_add_u32 v5, v5, 4, v104
	v_lshl_add_u32 v6, v6, 4, v104
	;; [unrolled: 1-line block ×6, first 2 shown]
	v_and_or_b32 v15, 0xe0, v15, v17
	v_and_or_b32 v16, 0x1e0, v16, v17
	;; [unrolled: 1-line block ×6, first 2 shown]
	v_lshl_add_u32 v15, v15, 4, v104
	v_fma_f64 v[62:63], v[62:63], 2.0, -v[46:47]
	v_fma_f64 v[64:65], v[64:65], 2.0, -v[48:49]
	;; [unrolled: 1-line block ×18, first 2 shown]
	v_lshl_add_u32 v16, v16, 4, v104
	ds_store_b128 v5, v[62:65]
	ds_store_b128 v5, v[46:49] offset:128
	ds_store_b128 v6, v[1:4]
	ds_store_b128 v6, v[50:53] offset:128
	;; [unrolled: 2-line block ×9, first 2 shown]
	global_wb scope:SCOPE_SE
	s_wait_dscnt 0x0
	s_barrier_signal -1
	s_barrier_wait -1
	global_inv scope:SCOPE_SE
	global_load_b128 v[4:7], v101, s[4:5] offset:224
	ds_load_b128 v[18:21], v85 offset:16128
	ds_load_b128 v[22:25], v85 offset:17920
	;; [unrolled: 1-line block ×9, first 2 shown]
	ds_load_b128 v[0:3], v103
	v_lshl_add_u32 v9, v9, 4, v104
	v_lshl_add_u32 v11, v11, 4, v104
	;; [unrolled: 1-line block ×4, first 2 shown]
	v_lshrrev_b32_e32 v97, 5, v96
	s_delay_alu instid0(VALU_DEP_1)
	v_mul_lo_u32 v97, 0x60, v97
	s_wait_loadcnt_dscnt 0x9
	v_mul_f64_e32 v[54:55], v[20:21], v[6:7]
	v_mul_f64_e32 v[62:63], v[18:19], v[6:7]
	s_wait_dscnt 0x8
	v_mul_f64_e32 v[64:65], v[24:25], v[6:7]
	v_mul_f64_e32 v[66:67], v[22:23], v[6:7]
	s_wait_dscnt 0x7
	v_mul_f64_e32 v[68:69], v[28:29], v[6:7]
	v_mul_f64_e32 v[70:71], v[26:27], v[6:7]
	s_wait_dscnt 0x6
	v_mul_f64_e32 v[72:73], v[32:33], v[6:7]
	v_mul_f64_e32 v[74:75], v[30:31], v[6:7]
	s_wait_dscnt 0x5
	v_mul_f64_e32 v[76:77], v[36:37], v[6:7]
	v_mul_f64_e32 v[78:79], v[34:35], v[6:7]
	s_wait_dscnt 0x4
	v_mul_f64_e32 v[80:81], v[40:41], v[6:7]
	v_mul_f64_e32 v[82:83], v[38:39], v[6:7]
	s_wait_dscnt 0x3
	v_mul_f64_e32 v[101:102], v[44:45], v[6:7]
	v_mul_f64_e32 v[105:106], v[42:43], v[6:7]
	s_wait_dscnt 0x2
	v_mul_f64_e32 v[107:108], v[48:49], v[6:7]
	v_mul_f64_e32 v[109:110], v[46:47], v[6:7]
	s_wait_dscnt 0x1
	v_mul_f64_e32 v[111:112], v[52:53], v[6:7]
	v_mul_f64_e32 v[6:7], v[50:51], v[6:7]
	v_fma_f64 v[54:55], v[18:19], v[4:5], -v[54:55]
	v_fma_f64 v[62:63], v[20:21], v[4:5], v[62:63]
	v_fma_f64 v[64:65], v[22:23], v[4:5], -v[64:65]
	v_fma_f64 v[66:67], v[24:25], v[4:5], v[66:67]
	;; [unrolled: 2-line block ×9, first 2 shown]
	ds_load_b128 v[4:7], v95
	ds_load_b128 v[18:21], v89
	;; [unrolled: 1-line block ×8, first 2 shown]
	global_wb scope:SCOPE_SE
	s_wait_dscnt 0x0
	s_barrier_signal -1
	s_barrier_wait -1
	global_inv scope:SCOPE_SE
	v_add_f64_e64 v[46:47], v[0:1], -v[54:55]
	v_add_f64_e64 v[48:49], v[2:3], -v[62:63]
	;; [unrolled: 1-line block ×18, first 2 shown]
	v_and_b32_e32 v62, 31, v84
	s_delay_alu instid0(VALU_DEP_1)
	v_lshlrev_b32_e32 v17, 5, v62
	v_fma_f64 v[0:1], v[0:1], 2.0, -v[46:47]
	v_fma_f64 v[2:3], v[2:3], 2.0, -v[48:49]
	;; [unrolled: 1-line block ×18, first 2 shown]
	ds_store_b128 v15, v[0:3]
	ds_store_b128 v15, v[46:49] offset:256
	ds_store_b128 v16, v[4:7]
	ds_store_b128 v16, v[50:53] offset:256
	;; [unrolled: 2-line block ×9, first 2 shown]
	v_and_b32_e32 v64, 31, v86
	v_and_b32_e32 v63, 31, v99
	global_wb scope:SCOPE_SE
	s_wait_dscnt 0x0
	s_barrier_signal -1
	s_barrier_wait -1
	v_lshlrev_b32_e32 v0, 5, v64
	v_lshlrev_b32_e32 v1, 5, v63
	global_inv scope:SCOPE_SE
	s_clause 0x5
	global_load_b128 v[24:27], v17, s[4:5] offset:480
	global_load_b128 v[28:31], v17, s[4:5] offset:496
	;; [unrolled: 1-line block ×6, first 2 shown]
	v_and_b32_e32 v65, 31, v96
	s_delay_alu instid0(VALU_DEP_1)
	v_lshlrev_b32_e32 v0, 5, v65
	s_clause 0x1
	global_load_b128 v[66:69], v0, s[4:5] offset:480
	global_load_b128 v[70:73], v0, s[4:5] offset:496
	ds_load_b128 v[8:11], v60
	ds_load_b128 v[36:39], v85 offset:21504
	ds_load_b128 v[0:3], v58
	ds_load_b128 v[46:49], v61
	ds_load_b128 v[50:53], v85 offset:23296
	v_or_b32_e32 v65, v97, v65
	s_delay_alu instid0(VALU_DEP_1)
	v_lshl_add_u32 v65, v65, 4, v104
	s_wait_loadcnt_dscnt 0x704
	v_mul_f64_e32 v[32:33], v[10:11], v[26:27]
	s_wait_loadcnt_dscnt 0x603
	v_mul_f64_e32 v[40:41], v[38:39], v[30:31]
	;; [unrolled: 2-line block ×3, first 2 shown]
	v_mul_f64_e32 v[14:15], v[46:47], v[14:15]
	s_wait_loadcnt_dscnt 0x400
	v_mul_f64_e32 v[101:102], v[52:53], v[18:19]
	v_mul_f64_e32 v[34:35], v[8:9], v[26:27]
	;; [unrolled: 1-line block ×4, first 2 shown]
	v_fma_f64 v[32:33], v[8:9], v[24:25], -v[32:33]
	v_fma_f64 v[8:9], v[36:37], v[28:29], -v[40:41]
	;; [unrolled: 1-line block ×3, first 2 shown]
	v_fma_f64 v[46:47], v[48:49], v[12:13], v[14:15]
	v_fma_f64 v[12:13], v[50:51], v[16:17], -v[101:102]
	v_mov_b32_e32 v102, 0
	ds_load_b128 v[74:77], v85 offset:16128
	ds_load_b128 v[78:81], v85 offset:26880
	ds_load_b128 v[105:108], v59
	ds_load_b128 v[109:112], v85 offset:25088
	ds_load_b128 v[113:116], v85 offset:17920
	;; [unrolled: 1-line block ×5, first 2 shown]
	ds_load_b128 v[4:7], v103
	v_fma_f64 v[34:35], v[10:11], v[24:25], v[34:35]
	v_fma_f64 v[10:11], v[38:39], v[28:29], v[54:55]
	;; [unrolled: 1-line block ×3, first 2 shown]
	v_lshrrev_b32_e32 v83, 5, v98
	v_add_nc_u32_e32 v101, 0xffffffa0, v84
	s_delay_alu instid0(VALU_DEP_2)
	v_mul_lo_u32 v83, 0x60, v83
	s_wait_loadcnt_dscnt 0x308
	v_mul_f64_e32 v[129:130], v[76:77], v[22:23]
	v_mul_f64_e32 v[22:23], v[74:75], v[22:23]
	s_wait_dscnt 0x6
	v_mul_f64_e32 v[133:134], v[107:108], v[26:27]
	v_mul_f64_e32 v[135:136], v[105:106], v[26:27]
	s_wait_dscnt 0x5
	v_mul_f64_e32 v[137:138], v[111:112], v[30:31]
	v_mul_f64_e32 v[139:140], v[109:110], v[30:31]
	s_wait_loadcnt 0x2
	v_mul_f64_e32 v[131:132], v[80:81], v[44:45]
	v_mul_f64_e32 v[44:45], v[78:79], v[44:45]
	s_wait_dscnt 0x4
	v_mul_f64_e32 v[141:142], v[115:116], v[26:27]
	v_mul_f64_e32 v[26:27], v[113:114], v[26:27]
	s_wait_dscnt 0x3
	v_mul_f64_e32 v[143:144], v[119:120], v[30:31]
	v_mul_f64_e32 v[30:31], v[117:118], v[30:31]
	s_wait_loadcnt_dscnt 0x102
	v_mul_f64_e32 v[145:146], v[123:124], v[68:69]
	v_mul_f64_e32 v[68:69], v[121:122], v[68:69]
	s_wait_loadcnt_dscnt 0x1
	v_mul_f64_e32 v[147:148], v[127:128], v[72:73]
	v_mul_f64_e32 v[72:73], v[125:126], v[72:73]
	v_add_f64_e64 v[153:154], v[32:33], -v[8:9]
	v_fma_f64 v[40:41], v[74:75], v[20:21], -v[129:130]
	v_fma_f64 v[50:51], v[76:77], v[20:21], v[22:23]
	v_fma_f64 v[38:39], v[105:106], v[24:25], -v[133:134]
	v_fma_f64 v[48:49], v[107:108], v[24:25], v[135:136]
	;; [unrolled: 2-line block ×8, first 2 shown]
	v_add_f64_e32 v[105:106], v[32:33], v[8:9]
	v_add_f64_e32 v[107:108], v[34:35], v[10:11]
	;; [unrolled: 1-line block ×4, first 2 shown]
	v_and_b32_e32 v127, 0xff, v86
	v_lshrrev_b32_e32 v67, 5, v86
	v_lshrrev_b32_e32 v68, 5, v100
	v_lshrrev_b32_e32 v69, 5, v99
	v_lshrrev_b32_e32 v66, 5, v84
	v_mul_lo_u16 v159, 0xab, v127
	v_mul_lo_u32 v156, 0x60, v67
	v_mul_lo_u32 v157, 0x60, v68
	v_mul_lo_u32 v158, 0x60, v69
	ds_load_b128 v[67:70], v95
	ds_load_b128 v[71:74], v89
	;; [unrolled: 1-line block ×4, first 2 shown]
	v_mul_u32_u24_e32 v129, 0x60, v66
	s_wait_dscnt 0x4
	v_add_f64_e32 v[131:132], v[4:5], v[32:33]
	s_wait_alu 0xf1ff
	v_cndmask_b32_e64 v66, v101, v84, s0
	global_wb scope:SCOPE_SE
	s_wait_dscnt 0x0
	s_barrier_signal -1
	v_or_b32_e32 v160, v129, v62
	v_add_f64_e32 v[129:130], v[6:7], v[34:35]
	v_add_f64_e64 v[34:35], v[34:35], -v[10:11]
	v_or_b32_e32 v63, v158, v63
	s_barrier_wait -1
	global_inv scope:SCOPE_SE
	v_add_f64_e32 v[113:114], v[38:39], v[16:17]
	v_add_f64_e32 v[115:116], v[48:49], v[18:19]
	;; [unrolled: 1-line block ×4, first 2 shown]
	v_lshl_add_u32 v63, v63, 4, v104
	v_lshrrev_b16 v32, 14, v159
	v_add_f64_e32 v[121:122], v[42:43], v[24:25]
	v_add_f64_e32 v[123:124], v[52:53], v[26:27]
	;; [unrolled: 1-line block ×8, first 2 shown]
	v_fma_f64 v[105:106], v[105:106], -0.5, v[4:5]
	v_fma_f64 v[107:108], v[107:108], -0.5, v[6:7]
	v_add_f64_e32 v[133:134], v[69:70], v[46:47]
	v_add_f64_e32 v[135:136], v[67:68], v[36:37]
	;; [unrolled: 1-line block ×6, first 2 shown]
	v_add_f64_e64 v[46:47], v[46:47], -v[14:15]
	v_fma_f64 v[67:68], v[109:110], -0.5, v[67:68]
	v_add_f64_e64 v[109:110], v[36:37], -v[12:13]
	v_fma_f64 v[69:70], v[111:112], -0.5, v[69:70]
	v_add_f64_e64 v[48:49], v[48:49], -v[18:19]
	v_add_f64_e64 v[111:112], v[38:39], -v[16:17]
	v_lshlrev_b32_e32 v101, 1, v66
	v_mul_lo_u16 v97, 0x60, v32
	v_and_b32_e32 v32, 0xffff, v32
	s_delay_alu instid0(VALU_DEP_2) | instskip(NEXT) | instid1(VALU_DEP_2)
	v_sub_nc_u16 v97, v86, v97
	v_mad_u32_u24 v32, 0x1200, v32, 0
	v_fma_f64 v[71:72], v[113:114], -0.5, v[71:72]
	v_fma_f64 v[73:74], v[115:116], -0.5, v[73:74]
	v_add_f64_e64 v[113:114], v[50:51], -v[22:23]
	v_fma_f64 v[75:76], v[117:118], -0.5, v[75:76]
	v_add_f64_e64 v[115:116], v[40:41], -v[20:21]
	;; [unrolled: 2-line block ×6, first 2 shown]
	v_fma_f64 v[125:126], v[127:128], -0.5, v[2:3]
	v_add_f64_e32 v[2:3], v[129:130], v[10:11]
	v_add_f64_e32 v[0:1], v[131:132], v[8:9]
	;; [unrolled: 1-line block ×6, first 2 shown]
	v_fma_f64 v[24:25], v[34:35], s[2:3], v[105:106]
	s_wait_alu 0xfffe
	v_fma_f64 v[26:27], v[153:154], s[6:7], v[107:108]
	v_add_f64_e32 v[6:7], v[133:134], v[14:15]
	v_add_f64_e32 v[4:5], v[135:136], v[12:13]
	v_add_f64_e32 v[14:15], v[141:142], v[22:23]
	v_add_f64_e32 v[12:13], v[143:144], v[20:21]
	v_add_f64_e32 v[22:23], v[149:150], v[30:31]
	v_add_f64_e32 v[20:21], v[151:152], v[28:29]
	v_fma_f64 v[28:29], v[34:35], s[6:7], v[105:106]
	v_fma_f64 v[30:31], v[153:154], s[2:3], v[107:108]
	;; [unrolled: 1-line block ×6, first 2 shown]
	v_or_b32_e32 v55, v156, v64
	v_or_b32_e32 v64, v157, v62
	;; [unrolled: 1-line block ×3, first 2 shown]
	v_lshl_add_u32 v83, v160, 4, v104
	v_fma_f64 v[41:42], v[48:49], s[2:3], v[71:72]
	v_fma_f64 v[43:44], v[111:112], s[6:7], v[73:74]
	;; [unrolled: 1-line block ×16, first 2 shown]
	v_lshl_add_u32 v55, v55, 4, v104
	v_lshl_add_u32 v64, v64, 4, v104
	;; [unrolled: 1-line block ×3, first 2 shown]
	ds_store_b128 v83, v[0:3]
	ds_store_b128 v83, v[24:27] offset:512
	ds_store_b128 v83, v[28:31] offset:1024
	ds_store_b128 v55, v[4:7]
	ds_store_b128 v55, v[33:36] offset:512
	ds_store_b128 v55, v[37:40] offset:1024
	;; [unrolled: 3-line block ×6, first 2 shown]
	v_mul_u32_u24_e32 v9, 0xaaab, v155
	v_lshlrev_b64_e32 v[53:54], 4, v[101:102]
	v_and_b32_e32 v13, 0xffff, v98
	v_and_b32_e32 v16, 0xff, v97
	;; [unrolled: 1-line block ×3, first 2 shown]
	v_lshrrev_b32_e32 v18, 22, v9
	global_wb scope:SCOPE_SE
	s_wait_dscnt 0x0
	v_add_co_u32 v53, s0, s4, v53
	v_mul_u32_u24_e32 v19, 0xaaab, v13
	v_mul_lo_u16 v20, 0x60, v18
	s_wait_alu 0xf1ff
	v_add_co_ci_u32_e64 v54, s0, s5, v54, s0
	s_barrier_signal -1
	v_lshrrev_b32_e32 v31, 22, v19
	v_sub_nc_u16 v20, v100, v20
	s_barrier_wait -1
	global_inv scope:SCOPE_SE
	global_load_b128 v[0:3], v[53:54], off offset:1504
	v_lshlrev_b32_e32 v12, 5, v16
	v_and_b32_e32 v19, 0xffff, v20
	global_load_b128 v[4:7], v[53:54], off offset:1520
	v_mul_u32_u24_e32 v14, 0xaaab, v8
	v_and_b32_e32 v21, 0xffff, v96
	global_load_b128 v[8:11], v12, s[4:5] offset:1504
	v_lshlrev_b32_e32 v27, 5, v19
	v_lshlrev_b32_e32 v83, 4, v66
	v_lshrrev_b32_e32 v17, 22, v14
	v_mul_u32_u24_e32 v21, 0xaaab, v21
	v_cmp_lt_u32_e64 s0, 0x5f, v84
	s_clause 0x1
	global_load_b128 v[23:26], v27, s[4:5] offset:1504
	global_load_b128 v[12:15], v12, s[4:5] offset:1520
	v_mul_lo_u16 v22, 0x60, v17
	v_lshrrev_b32_e32 v21, 22, v21
	v_lshlrev_b32_e32 v16, 4, v16
	v_mad_u32_u24 v18, 0x1200, v18, 0
	v_mad_u32_u24 v17, 0x1200, v17, 0
	v_sub_nc_u16 v20, v99, v22
	v_mul_lo_u16 v22, 0x60, v31
	v_mul_lo_u16 v28, 0x60, v21
	v_mad_u32_u24 v31, 0x1200, v31, 0
	v_mad_u32_u24 v21, 0x1200, v21, 0
	v_and_b32_e32 v20, 0xffff, v20
	v_sub_nc_u16 v22, v98, v22
	v_sub_nc_u16 v38, v96, v28
	v_lshlrev_b32_e32 v19, 4, v19
	v_add3_u32 v16, v32, v16, v56
	v_lshlrev_b32_e32 v37, 5, v20
	v_and_b32_e32 v22, 0xffff, v22
	v_and_b32_e32 v55, 0xffff, v38
	s_clause 0x1
	global_load_b128 v[27:30], v27, s[4:5] offset:1520
	global_load_b128 v[33:36], v37, s[4:5] offset:1504
	v_lshlrev_b32_e32 v20, 4, v20
	v_lshlrev_b32_e32 v45, 5, v22
	s_clause 0x1
	global_load_b128 v[37:40], v37, s[4:5] offset:1520
	global_load_b128 v[41:44], v45, s[4:5] offset:1504
	v_lshlrev_b32_e32 v53, 5, v55
	s_clause 0x2
	global_load_b128 v[45:48], v45, s[4:5] offset:1520
	global_load_b128 v[49:52], v53, s[4:5] offset:1504
	;; [unrolled: 1-line block ×3, first 2 shown]
	ds_load_b128 v[67:70], v60
	ds_load_b128 v[71:74], v85 offset:21504
	ds_load_b128 v[75:78], v61
	ds_load_b128 v[79:82], v85 offset:23296
	ds_load_b128 v[105:108], v58
	ds_load_b128 v[58:61], v59
	ds_load_b128 v[109:112], v85 offset:25088
	ds_load_b128 v[113:116], v85 offset:16128
	;; [unrolled: 1-line block ×7, first 2 shown]
	ds_load_b128 v[137:140], v103
	v_lshlrev_b32_e32 v22, 4, v22
	v_add3_u32 v18, v18, v19, v56
	v_add3_u32 v17, v17, v20, v56
	s_delay_alu instid0(VALU_DEP_3)
	v_add3_u32 v19, v31, v22, v56
	s_wait_loadcnt_dscnt 0xb0d
	v_mul_f64_e32 v[53:54], v[69:70], v[2:3]
	v_mul_f64_e32 v[2:3], v[67:68], v[2:3]
	s_wait_loadcnt_dscnt 0xa0c
	v_mul_f64_e32 v[141:142], v[73:74], v[6:7]
	v_mul_f64_e32 v[6:7], v[71:72], v[6:7]
	;; [unrolled: 3-line block ×3, first 2 shown]
	s_wait_loadcnt_dscnt 0x808
	v_mul_f64_e32 v[147:148], v[60:61], v[25:26]
	s_wait_loadcnt 0x7
	v_mul_f64_e32 v[145:146], v[81:82], v[14:15]
	v_mul_f64_e32 v[14:15], v[79:80], v[14:15]
	;; [unrolled: 1-line block ×3, first 2 shown]
	v_fma_f64 v[53:54], v[67:68], v[0:1], -v[53:54]
	v_fma_f64 v[67:68], v[69:70], v[0:1], v[2:3]
	s_wait_loadcnt_dscnt 0x607
	v_mul_f64_e32 v[0:1], v[111:112], v[29:30]
	v_mul_f64_e32 v[2:3], v[109:110], v[29:30]
	s_wait_loadcnt_dscnt 0x506
	v_mul_f64_e32 v[29:30], v[115:116], v[35:36]
	v_mul_f64_e32 v[35:36], v[113:114], v[35:36]
	v_fma_f64 v[69:70], v[71:72], v[4:5], -v[141:142]
	v_fma_f64 v[71:72], v[73:74], v[4:5], v[6:7]
	s_wait_loadcnt_dscnt 0x405
	v_mul_f64_e32 v[4:5], v[119:120], v[39:40]
	v_mul_f64_e32 v[6:7], v[117:118], v[39:40]
	s_wait_loadcnt_dscnt 0x304
	v_mul_f64_e32 v[39:40], v[123:124], v[43:44]
	v_mul_f64_e32 v[43:44], v[121:122], v[43:44]
	v_fma_f64 v[73:74], v[75:76], v[8:9], -v[143:144]
	v_fma_f64 v[75:76], v[77:78], v[8:9], v[10:11]
	s_wait_loadcnt_dscnt 0x203
	v_mul_f64_e32 v[8:9], v[127:128], v[47:48]
	v_mul_f64_e32 v[10:11], v[125:126], v[47:48]
	s_wait_loadcnt_dscnt 0x102
	v_mul_f64_e32 v[47:48], v[131:132], v[51:52]
	s_wait_loadcnt_dscnt 0x1
	v_mul_f64_e32 v[77:78], v[135:136], v[64:65]
	v_fma_f64 v[79:80], v[79:80], v[12:13], -v[145:146]
	v_fma_f64 v[81:82], v[81:82], v[12:13], v[14:15]
	v_mul_f64_e32 v[12:13], v[129:130], v[51:52]
	v_mul_f64_e32 v[14:15], v[133:134], v[64:65]
	v_fma_f64 v[51:52], v[58:59], v[23:24], -v[147:148]
	v_fma_f64 v[23:24], v[60:61], v[23:24], v[25:26]
	v_fma_f64 v[58:59], v[109:110], v[27:28], -v[0:1]
	v_fma_f64 v[60:61], v[111:112], v[27:28], v[2:3]
	;; [unrolled: 2-line block ×5, first 2 shown]
	v_add_f64_e32 v[43:44], v[53:54], v[69:70]
	ds_load_b128 v[0:3], v95
	ds_load_b128 v[4:7], v89
	v_fma_f64 v[109:110], v[125:126], v[45:46], -v[8:9]
	v_fma_f64 v[41:42], v[127:128], v[45:46], v[10:11]
	v_fma_f64 v[35:36], v[129:130], v[49:50], -v[47:48]
	v_fma_f64 v[45:46], v[133:134], v[62:63], -v[77:78]
	ds_load_b128 v[8:11], v93
	v_add_f64_e32 v[77:78], v[75:76], v[81:82]
	v_fma_f64 v[39:40], v[131:132], v[49:50], v[12:13]
	v_fma_f64 v[47:48], v[135:136], v[62:63], v[14:15]
	ds_load_b128 v[12:15], v57
	v_add_f64_e32 v[49:50], v[67:68], v[71:72]
	v_add_f64_e32 v[62:63], v[73:74], v[79:80]
	s_wait_dscnt 0x4
	v_add_f64_e32 v[127:128], v[139:140], v[67:68]
	v_add_f64_e32 v[129:130], v[137:138], v[53:54]
	v_add_f64_e64 v[66:67], v[67:68], -v[71:72]
	v_add_f64_e64 v[53:54], v[53:54], -v[69:70]
	s_wait_alu 0xf1ff
	v_cndmask_b32_e64 v57, 0, 0x1200, s0
	global_wb scope:SCOPE_SE
	s_wait_dscnt 0x0
	s_barrier_signal -1
	v_add_f64_e32 v[131:132], v[2:3], v[75:76]
	v_add_f64_e32 v[133:134], v[0:1], v[73:74]
	;; [unrolled: 1-line block ×4, first 2 shown]
	v_add_f64_e64 v[75:76], v[75:76], -v[81:82]
	v_add_f64_e64 v[73:74], v[73:74], -v[79:80]
	v_add_nc_u32_e32 v57, 0, v57
	s_barrier_wait -1
	v_add_f64_e32 v[111:112], v[51:52], v[58:59]
	v_add_f64_e32 v[113:114], v[23:24], v[60:61]
	;; [unrolled: 1-line block ×4, first 2 shown]
	v_add_f64_e64 v[155:156], v[51:52], -v[58:59]
	v_add3_u32 v83, v57, v83, v56
	v_add_f64_e32 v[115:116], v[25:26], v[64:65]
	v_add_f64_e32 v[117:118], v[27:28], v[37:38]
	v_add_f64_e64 v[157:158], v[27:28], -v[37:38]
	v_add_f64_e32 v[147:148], v[14:15], v[33:34]
	v_fma_f64 v[137:138], v[43:44], -0.5, v[137:138]
	v_add_f64_e32 v[149:150], v[12:13], v[29:30]
	v_add_f64_e32 v[119:120], v[29:30], v[109:110]
	;; [unrolled: 1-line block ×5, first 2 shown]
	v_add_f64_e64 v[159:160], v[35:36], -v[45:46]
	v_fma_f64 v[2:3], v[77:78], -0.5, v[2:3]
	v_add_f64_e32 v[151:152], v[107:108], v[39:40]
	v_add_f64_e32 v[125:126], v[39:40], v[47:48]
	v_add_f64_e64 v[77:78], v[23:24], -v[60:61]
	v_fma_f64 v[139:140], v[49:50], -0.5, v[139:140]
	v_fma_f64 v[0:1], v[62:63], -0.5, v[0:1]
	global_inv scope:SCOPE_SE
	v_add_f64_e32 v[23:24], v[129:130], v[69:70]
	v_cmp_gt_u32_e64 s0, 64, v84
	v_add_f64_e32 v[27:28], v[133:134], v[79:80]
	v_add_f64_e32 v[35:36], v[135:136], v[60:61]
	v_fma_f64 v[111:112], v[111:112], -0.5, v[4:5]
	v_fma_f64 v[113:114], v[113:114], -0.5, v[6:7]
	;; [unrolled: 1-line block ×3, first 2 shown]
	v_add_f64_e64 v[115:116], v[25:26], -v[64:65]
	v_fma_f64 v[10:11], v[117:118], -0.5, v[10:11]
	v_add_f64_e64 v[117:118], v[33:34], -v[41:42]
	v_add_f64_e32 v[25:26], v[127:128], v[71:72]
	v_fma_f64 v[49:50], v[66:67], s[6:7], v[137:138]
	v_fma_f64 v[12:13], v[119:120], -0.5, v[12:13]
	v_add_f64_e64 v[119:120], v[29:30], -v[109:110]
	v_fma_f64 v[14:15], v[121:122], -0.5, v[14:15]
	v_add_f64_e64 v[121:122], v[39:40], -v[47:48]
	v_fma_f64 v[123:124], v[123:124], -0.5, v[105:106]
	v_add_f64_e32 v[4:5], v[153:154], v[45:46]
	v_add_f64_e32 v[6:7], v[151:152], v[47:48]
	v_fma_f64 v[125:126], v[125:126], -0.5, v[107:108]
	v_fma_f64 v[45:46], v[66:67], s[2:3], v[137:138]
	v_fma_f64 v[47:48], v[53:54], s[6:7], v[139:140]
	;; [unrolled: 1-line block ×3, first 2 shown]
	v_add_f64_e32 v[29:30], v[131:132], v[81:82]
	v_add_f64_e32 v[33:34], v[141:142], v[58:59]
	v_fma_f64 v[57:58], v[75:76], s[2:3], v[0:1]
	v_fma_f64 v[59:60], v[73:74], s[6:7], v[2:3]
	v_add_f64_e32 v[39:40], v[143:144], v[37:38]
	v_add_f64_e32 v[37:38], v[145:146], v[64:65]
	v_fma_f64 v[61:62], v[75:76], s[6:7], v[0:1]
	v_fma_f64 v[63:64], v[73:74], s[2:3], v[2:3]
	v_add_f64_e32 v[43:44], v[147:148], v[41:42]
	v_add_f64_e32 v[41:42], v[149:150], v[109:110]
	v_lshlrev_b32_e32 v53, 4, v55
	v_fma_f64 v[65:66], v[77:78], s[2:3], v[111:112]
	v_fma_f64 v[67:68], v[155:156], s[6:7], v[113:114]
	;; [unrolled: 1-line block ×4, first 2 shown]
	v_add3_u32 v20, v21, v53, v56
	v_fma_f64 v[73:74], v[157:158], s[2:3], v[8:9]
	v_fma_f64 v[77:78], v[157:158], s[6:7], v[8:9]
	;; [unrolled: 1-line block ×12, first 2 shown]
	ds_store_b128 v83, v[23:26]
	ds_store_b128 v83, v[45:48] offset:1536
	ds_store_b128 v83, v[49:52] offset:3072
	ds_store_b128 v16, v[27:30]
	ds_store_b128 v16, v[57:60] offset:1536
	ds_store_b128 v16, v[61:64] offset:3072
	;; [unrolled: 3-line block ×6, first 2 shown]
	global_wb scope:SCOPE_SE
	s_wait_dscnt 0x0
	s_barrier_signal -1
	s_barrier_wait -1
	global_inv scope:SCOPE_SE
	ds_load_b128 v[32:35], v103
	ds_load_b128 v[72:75], v85 offset:4608
	ds_load_b128 v[68:71], v85 offset:9216
	;; [unrolled: 1-line block ×11, first 2 shown]
	ds_load_b128 v[28:31], v95
	ds_load_b128 v[64:67], v85 offset:29440
                                        ; implicit-def: $vgpr26_vgpr27
                                        ; implicit-def: $vgpr22_vgpr23
                                        ; implicit-def: $vgpr18_vgpr19
	s_and_saveexec_b32 s1, s0
	s_cbranch_execz .LBB0_15
; %bb.14:
	ds_load_b128 v[0:3], v89
	ds_load_b128 v[4:7], v85 offset:8192
	ds_load_b128 v[8:11], v85 offset:12800
	;; [unrolled: 1-line block ×6, first 2 shown]
.LBB0_15:
	s_wait_alu 0xfffe
	s_or_b32 exec_lo, exec_lo, s1
	v_mul_u32_u24_e32 v97, 6, v84
	v_mul_i32_i24_e32 v101, 6, v86
	s_mov_b32 s12, 0x37e14327
	s_mov_b32 s14, 0xe976ee23
	;; [unrolled: 1-line block ×3, first 2 shown]
	v_lshlrev_b32_e32 v97, 4, v97
	v_lshlrev_b64_e32 v[101:102], 4, v[101:102]
	s_mov_b32 s15, 0xbfe11646
	s_mov_b32 s2, 0x429ad128
	;; [unrolled: 1-line block ×3, first 2 shown]
	s_clause 0x3
	global_load_b128 v[105:108], v97, s[4:5] offset:4576
	global_load_b128 v[109:112], v97, s[4:5] offset:4592
	;; [unrolled: 1-line block ×4, first 2 shown]
	s_mov_b32 s3, 0x3febfeb5
	v_add_co_u32 v101, s1, s4, v101
	s_wait_alu 0xf1ff
	v_add_co_ci_u32_e64 v102, s1, s5, v102, s1
	s_mov_b32 s7, 0x3fac98ee
	s_mov_b32 s10, 0xaaaaaaaa
	s_clause 0x7
	global_load_b128 v[121:124], v[101:102], off offset:4576
	global_load_b128 v[125:128], v[101:102], off offset:4592
	global_load_b128 v[129:132], v[101:102], off offset:4656
	global_load_b128 v[133:136], v[101:102], off offset:4640
	global_load_b128 v[137:140], v97, s[4:5] offset:4608
	global_load_b128 v[141:144], v97, s[4:5] offset:4624
	global_load_b128 v[145:148], v[101:102], off offset:4608
	global_load_b128 v[149:152], v[101:102], off offset:4624
	s_mov_b32 s20, 0xb247c609
	s_mov_b32 s11, 0xbff2aaaa
	;; [unrolled: 1-line block ×8, first 2 shown]
	s_wait_alu 0xfffe
	s_mov_b32 s22, s20
	s_mov_b32 s24, 0x37c3f68c
	;; [unrolled: 1-line block ×3, first 2 shown]
	global_wb scope:SCOPE_SE
	s_wait_loadcnt_dscnt 0x0
	s_barrier_signal -1
	s_barrier_wait -1
	global_inv scope:SCOPE_SE
	v_mul_f64_e32 v[101:102], v[74:75], v[107:108]
	v_mul_f64_e32 v[107:108], v[72:73], v[107:108]
	;; [unrolled: 1-line block ×20, first 2 shown]
	v_fma_f64 v[72:73], v[72:73], v[105:106], -v[101:102]
	v_fma_f64 v[74:75], v[74:75], v[105:106], v[107:108]
	v_fma_f64 v[68:69], v[68:69], v[109:110], -v[153:154]
	v_fma_f64 v[70:71], v[70:71], v[109:110], v[111:112]
	;; [unrolled: 2-line block ×4, first 2 shown]
	v_mul_f64_e32 v[101:102], v[38:39], v[147:148]
	v_mul_f64_e32 v[105:106], v[36:37], v[147:148]
	;; [unrolled: 1-line block ×4, first 2 shown]
	v_fma_f64 v[52:53], v[52:53], v[121:122], -v[159:160]
	v_fma_f64 v[54:55], v[54:55], v[121:122], v[123:124]
	v_fma_f64 v[56:57], v[56:57], v[125:126], -v[161:162]
	v_fma_f64 v[58:59], v[58:59], v[125:126], v[127:128]
	v_fma_f64 v[64:65], v[64:65], v[129:130], -v[163:164]
	v_fma_f64 v[66:67], v[66:67], v[129:130], v[131:132]
	v_fma_f64 v[60:61], v[60:61], v[133:134], -v[165:166]
	v_fma_f64 v[62:63], v[62:63], v[133:134], v[135:136]
	v_fma_f64 v[44:45], v[44:45], v[137:138], -v[167:168]
	v_fma_f64 v[46:47], v[46:47], v[137:138], v[139:140]
	v_fma_f64 v[48:49], v[48:49], v[141:142], -v[169:170]
	v_fma_f64 v[50:51], v[50:51], v[141:142], v[143:144]
	v_add_f64_e32 v[111:112], v[72:73], v[80:81]
	v_add_f64_e32 v[113:114], v[74:75], v[82:83]
	;; [unrolled: 1-line block ×4, first 2 shown]
	v_fma_f64 v[36:37], v[36:37], v[145:146], -v[101:102]
	v_fma_f64 v[38:39], v[38:39], v[145:146], v[105:106]
	v_fma_f64 v[40:41], v[40:41], v[149:150], -v[107:108]
	v_fma_f64 v[42:43], v[42:43], v[149:150], v[109:110]
	v_add_f64_e64 v[68:69], v[68:69], -v[76:77]
	v_add_f64_e64 v[70:71], v[70:71], -v[78:79]
	v_add_f64_e32 v[101:102], v[52:53], v[64:65]
	v_add_f64_e32 v[105:106], v[54:55], v[66:67]
	;; [unrolled: 1-line block ×4, first 2 shown]
	v_add_f64_e64 v[56:57], v[56:57], -v[60:61]
	v_add_f64_e64 v[58:59], v[58:59], -v[62:63]
	v_add_f64_e32 v[119:120], v[44:45], v[48:49]
	v_add_f64_e32 v[121:122], v[46:47], v[50:51]
	v_add_f64_e64 v[44:45], v[48:49], -v[44:45]
	v_add_f64_e64 v[46:47], v[50:51], -v[46:47]
	;; [unrolled: 1-line block ×4, first 2 shown]
	v_add_f64_e32 v[72:73], v[115:116], v[111:112]
	v_add_f64_e32 v[74:75], v[117:118], v[113:114]
	;; [unrolled: 1-line block ×4, first 2 shown]
	v_add_f64_e64 v[36:37], v[40:41], -v[36:37]
	v_add_f64_e64 v[38:39], v[42:43], -v[38:39]
	v_add_f64_e64 v[40:41], v[52:53], -v[64:65]
	v_add_f64_e64 v[42:43], v[54:55], -v[66:67]
	v_add_f64_e32 v[52:53], v[107:108], v[101:102]
	v_add_f64_e32 v[54:55], v[109:110], v[105:106]
	v_add_f64_e64 v[64:65], v[111:112], -v[119:120]
	v_add_f64_e64 v[66:67], v[113:114], -v[121:122]
	v_add_f64_e64 v[80:81], v[44:45], -v[68:69]
	v_add_f64_e64 v[82:83], v[46:47], -v[70:71]
	v_add_f64_e64 v[123:124], v[68:69], -v[48:49]
	v_add_f64_e64 v[125:126], v[70:71], -v[50:51]
	v_add_f64_e64 v[76:77], v[119:120], -v[115:116]
	v_add_f64_e64 v[78:79], v[121:122], -v[117:118]
	v_add_f64_e32 v[68:69], v[44:45], v[68:69]
	v_add_f64_e32 v[70:71], v[46:47], v[70:71]
	v_add_f64_e64 v[44:45], v[48:49], -v[44:45]
	v_add_f64_e64 v[46:47], v[50:51], -v[46:47]
	;; [unrolled: 1-line block ×4, first 2 shown]
	v_add_f64_e32 v[72:73], v[119:120], v[72:73]
	v_add_f64_e32 v[74:75], v[121:122], v[74:75]
	v_add_f64_e64 v[119:120], v[101:102], -v[60:61]
	v_add_f64_e64 v[121:122], v[105:106], -v[62:63]
	;; [unrolled: 1-line block ×6, first 2 shown]
	v_add_f64_e32 v[56:57], v[36:37], v[56:57]
	v_add_f64_e32 v[58:59], v[38:39], v[58:59]
	;; [unrolled: 1-line block ×4, first 2 shown]
	v_add_f64_e64 v[60:61], v[60:61], -v[107:108]
	v_add_f64_e64 v[62:63], v[62:63], -v[109:110]
	v_mul_f64_e32 v[64:65], s[12:13], v[64:65]
	v_mul_f64_e32 v[66:67], s[12:13], v[66:67]
	;; [unrolled: 1-line block ×8, first 2 shown]
	v_add_f64_e64 v[36:37], v[40:41], -v[36:37]
	v_add_f64_e64 v[38:39], v[42:43], -v[38:39]
	;; [unrolled: 1-line block ×4, first 2 shown]
	v_add_f64_e32 v[48:49], v[68:69], v[48:49]
	v_add_f64_e32 v[50:51], v[70:71], v[50:51]
	;; [unrolled: 1-line block ×4, first 2 shown]
	v_mul_f64_e32 v[119:120], s[12:13], v[119:120]
	v_mul_f64_e32 v[121:122], s[12:13], v[121:122]
	;; [unrolled: 1-line block ×6, first 2 shown]
	v_add_f64_e32 v[40:41], v[56:57], v[40:41]
	v_add_f64_e32 v[42:43], v[58:59], v[42:43]
	;; [unrolled: 1-line block ×4, first 2 shown]
	v_mul_f64_e32 v[107:108], s[6:7], v[60:61]
	v_mul_f64_e32 v[109:110], s[6:7], v[62:63]
	v_fma_f64 v[56:57], v[76:77], s[6:7], v[64:65]
	v_fma_f64 v[58:59], v[78:79], s[6:7], v[66:67]
	;; [unrolled: 1-line block ×4, first 2 shown]
	s_wait_alu 0xfffe
	v_fma_f64 v[44:45], v[44:45], s[22:23], -v[135:136]
	v_fma_f64 v[46:47], v[46:47], s[22:23], -v[137:138]
	;; [unrolled: 1-line block ×8, first 2 shown]
	v_fma_f64 v[72:73], v[72:73], s[10:11], v[32:33]
	v_fma_f64 v[74:75], v[74:75], s[10:11], v[34:35]
	;; [unrolled: 1-line block ×6, first 2 shown]
	v_fma_f64 v[115:116], v[131:132], s[2:3], -v[127:128]
	v_fma_f64 v[117:118], v[133:134], s[2:3], -v[129:130]
	;; [unrolled: 1-line block ×4, first 2 shown]
	v_fma_f64 v[52:53], v[52:53], s[10:11], v[28:29]
	v_fma_f64 v[54:55], v[54:55], s[10:11], v[30:31]
	v_fma_f64 v[119:120], v[101:102], s[18:19], -v[119:120]
	v_fma_f64 v[121:122], v[105:106], s[18:19], -v[121:122]
	;; [unrolled: 1-line block ×4, first 2 shown]
	v_fma_f64 v[76:77], v[48:49], s[24:25], v[76:77]
	v_fma_f64 v[78:79], v[50:51], s[24:25], v[78:79]
	;; [unrolled: 1-line block ×6, first 2 shown]
	v_add_f64_e32 v[56:57], v[56:57], v[72:73]
	v_add_f64_e32 v[58:59], v[58:59], v[74:75]
	;; [unrolled: 1-line block ×6, first 2 shown]
	v_fma_f64 v[111:112], v[40:41], s[24:25], v[111:112]
	v_fma_f64 v[113:114], v[42:43], s[24:25], v[113:114]
	;; [unrolled: 1-line block ×6, first 2 shown]
	v_add_f64_e32 v[123:124], v[60:61], v[52:53]
	v_add_f64_e32 v[125:126], v[62:63], v[54:55]
	;; [unrolled: 1-line block ×7, first 2 shown]
	v_add_f64_e64 v[38:39], v[58:59], -v[76:77]
	v_add_f64_e32 v[40:41], v[109:110], v[64:65]
	v_add_f64_e64 v[42:43], v[66:67], -v[107:108]
	v_add_f64_e64 v[44:45], v[48:49], -v[82:83]
	v_add_f64_e32 v[46:47], v[80:81], v[50:51]
	v_add_f64_e32 v[48:49], v[82:83], v[48:49]
	v_add_f64_e64 v[50:51], v[50:51], -v[80:81]
	v_add_f64_e64 v[52:53], v[64:65], -v[109:110]
	v_add_f64_e32 v[54:55], v[107:108], v[66:67]
	v_add_f64_e64 v[56:57], v[56:57], -v[78:79]
	v_add_f64_e32 v[58:59], v[76:77], v[58:59]
	v_add_f64_e32 v[60:61], v[113:114], v[123:124]
	v_add_f64_e64 v[62:63], v[125:126], -v[111:112]
	v_add_f64_e32 v[64:65], v[117:118], v[119:120]
	v_add_f64_e64 v[66:67], v[121:122], -v[115:116]
	v_add_f64_e64 v[68:69], v[101:102], -v[72:73]
	v_add_f64_e32 v[70:71], v[74:75], v[105:106]
	v_add_f64_e32 v[72:73], v[72:73], v[101:102]
	v_add_f64_e64 v[74:75], v[105:106], -v[74:75]
	v_add_f64_e64 v[76:77], v[119:120], -v[117:118]
	v_add_f64_e32 v[78:79], v[115:116], v[121:122]
	v_add_f64_e64 v[80:81], v[123:124], -v[113:114]
	v_add_f64_e32 v[82:83], v[111:112], v[125:126]
	ds_store_b128 v85, v[32:35]
	ds_store_b128 v85, v[36:39] offset:4608
	ds_store_b128 v85, v[40:43] offset:9216
	;; [unrolled: 1-line block ×6, first 2 shown]
	ds_store_b128 v95, v[28:31]
	ds_store_b128 v95, v[60:63] offset:4608
	ds_store_b128 v95, v[64:67] offset:9216
	;; [unrolled: 1-line block ×6, first 2 shown]
	s_and_saveexec_b32 s1, s0
	s_cbranch_execz .LBB0_17
; %bb.16:
	v_subrev_nc_u32_e32 v28, 64, v84
	v_mov_b32_e32 v29, 0
	s_delay_alu instid0(VALU_DEP_2) | instskip(NEXT) | instid1(VALU_DEP_1)
	v_cndmask_b32_e64 v28, v28, v100, s0
	v_mul_i32_i24_e32 v28, 6, v28
	s_delay_alu instid0(VALU_DEP_1) | instskip(NEXT) | instid1(VALU_DEP_1)
	v_lshlrev_b64_e32 v[28:29], 4, v[28:29]
	v_add_co_u32 v48, s0, s4, v28
	s_wait_alu 0xf1ff
	s_delay_alu instid0(VALU_DEP_2)
	v_add_co_ci_u32_e64 v49, s0, s5, v29, s0
	s_clause 0x5
	global_load_b128 v[28:31], v[48:49], off offset:4656
	global_load_b128 v[32:35], v[48:49], off offset:4576
	;; [unrolled: 1-line block ×6, first 2 shown]
	s_wait_loadcnt 0x5
	v_mul_f64_e32 v[52:53], v[24:25], v[30:31]
	s_wait_loadcnt 0x4
	v_mul_f64_e32 v[54:55], v[4:5], v[34:35]
	;; [unrolled: 2-line block ×4, first 2 shown]
	v_mul_f64_e32 v[34:35], v[6:7], v[34:35]
	v_mul_f64_e32 v[30:31], v[26:27], v[30:31]
	;; [unrolled: 1-line block ×4, first 2 shown]
	s_wait_loadcnt 0x1
	v_mul_f64_e32 v[60:61], v[18:19], v[46:47]
	s_wait_loadcnt 0x0
	v_mul_f64_e32 v[62:63], v[14:15], v[50:51]
	v_mul_f64_e32 v[50:51], v[12:13], v[50:51]
	;; [unrolled: 1-line block ×3, first 2 shown]
	v_fma_f64 v[26:27], v[26:27], v[28:29], v[52:53]
	v_fma_f64 v[6:7], v[6:7], v[32:33], v[54:55]
	;; [unrolled: 1-line block ×4, first 2 shown]
	v_fma_f64 v[4:5], v[4:5], v[32:33], -v[34:35]
	v_fma_f64 v[24:25], v[24:25], v[28:29], -v[30:31]
	;; [unrolled: 1-line block ×6, first 2 shown]
	v_fma_f64 v[14:15], v[14:15], v[48:49], v[50:51]
	v_fma_f64 v[18:19], v[18:19], v[44:45], v[46:47]
	v_add_f64_e32 v[28:29], v[6:7], v[26:27]
	v_add_f64_e64 v[6:7], v[6:7], -v[26:27]
	v_add_f64_e32 v[30:31], v[10:11], v[22:23]
	v_add_f64_e64 v[10:11], v[10:11], -v[22:23]
	v_add_f64_e32 v[32:33], v[4:5], v[24:25]
	v_add_f64_e64 v[4:5], v[4:5], -v[24:25]
	v_add_f64_e32 v[34:35], v[8:9], v[20:21]
	v_add_f64_e64 v[8:9], v[8:9], -v[20:21]
	v_add_f64_e64 v[36:37], v[16:17], -v[12:13]
	v_add_f64_e32 v[12:13], v[12:13], v[16:17]
	v_add_f64_e32 v[20:21], v[14:15], v[18:19]
	v_add_f64_e64 v[14:15], v[18:19], -v[14:15]
	v_add_f64_e32 v[16:17], v[30:31], v[28:29]
	v_add_f64_e64 v[42:43], v[10:11], -v[6:7]
	;; [unrolled: 2-line block ×3, first 2 shown]
	v_add_f64_e64 v[22:23], v[36:37], -v[8:9]
	v_add_f64_e64 v[26:27], v[32:33], -v[12:13]
	;; [unrolled: 1-line block ×5, first 2 shown]
	v_add_f64_e32 v[8:9], v[36:37], v[8:9]
	v_add_f64_e32 v[10:11], v[14:15], v[10:11]
	v_add_f64_e64 v[14:15], v[6:7], -v[14:15]
	v_add_f64_e64 v[28:29], v[30:31], -v[28:29]
	;; [unrolled: 1-line block ×3, first 2 shown]
	v_add_f64_e32 v[16:17], v[20:21], v[16:17]
	v_add_f64_e64 v[20:21], v[20:21], -v[30:31]
	v_mul_f64_e32 v[46:47], s[2:3], v[42:43]
	v_add_f64_e32 v[18:19], v[12:13], v[18:19]
	v_add_f64_e64 v[12:13], v[12:13], -v[34:35]
	v_mul_f64_e32 v[22:23], s[14:15], v[22:23]
	v_mul_f64_e32 v[26:27], s[12:13], v[26:27]
	;; [unrolled: 1-line block ×5, first 2 shown]
	v_add_f64_e32 v[4:5], v[8:9], v[4:5]
	v_add_f64_e32 v[6:7], v[10:11], v[6:7]
	;; [unrolled: 1-line block ×3, first 2 shown]
	v_mul_f64_e32 v[30:31], s[6:7], v[20:21]
	v_add_f64_e32 v[0:1], v[0:1], v[18:19]
	v_mul_f64_e32 v[34:35], s[6:7], v[12:13]
	v_fma_f64 v[8:9], v[44:45], s[20:21], v[22:23]
	v_fma_f64 v[12:13], v[12:13], s[6:7], v[26:27]
	;; [unrolled: 1-line block ×3, first 2 shown]
	v_fma_f64 v[20:21], v[44:45], s[22:23], -v[36:37]
	v_fma_f64 v[22:23], v[38:39], s[2:3], -v[22:23]
	;; [unrolled: 1-line block ×5, first 2 shown]
	v_fma_f64 v[16:17], v[16:17], s[10:11], v[2:3]
	v_fma_f64 v[28:29], v[28:29], s[16:17], -v[30:31]
	v_fma_f64 v[30:31], v[14:15], s[20:21], v[40:41]
	v_fma_f64 v[14:15], v[14:15], s[22:23], -v[46:47]
	;; [unrolled: 2-line block ×3, first 2 shown]
	v_fma_f64 v[8:9], v[4:5], s[24:25], v[8:9]
	v_fma_f64 v[20:21], v[4:5], s[24:25], v[20:21]
	;; [unrolled: 1-line block ×4, first 2 shown]
	v_add_f64_e32 v[34:35], v[10:11], v[16:17]
	v_add_f64_e32 v[22:23], v[24:25], v[16:17]
	;; [unrolled: 1-line block ×3, first 2 shown]
	v_fma_f64 v[28:29], v[6:7], s[24:25], v[30:31]
	v_add_f64_e32 v[38:39], v[12:13], v[18:19]
	v_fma_f64 v[30:31], v[6:7], s[24:25], v[14:15]
	v_add_f64_e32 v[40:41], v[26:27], v[18:19]
	v_add_f64_e32 v[12:13], v[32:33], v[18:19]
	v_add_f64_e64 v[26:27], v[34:35], -v[8:9]
	v_add_f64_e32 v[10:11], v[20:21], v[22:23]
	v_add_f64_e64 v[22:23], v[22:23], -v[20:21]
	v_add_f64_e64 v[14:15], v[16:17], -v[4:5]
	v_add_f64_e32 v[24:25], v[28:29], v[38:39]
	v_add_f64_e32 v[18:19], v[4:5], v[16:17]
	;; [unrolled: 1-line block ×3, first 2 shown]
	v_add_f64_e64 v[16:17], v[12:13], -v[36:37]
	v_add_f64_e32 v[12:13], v[36:37], v[12:13]
	v_add_f64_e32 v[6:7], v[8:9], v[34:35]
	v_add_f64_e64 v[8:9], v[40:41], -v[30:31]
	v_add_f64_e64 v[4:5], v[38:39], -v[28:29]
	ds_store_b128 v85, v[0:3] offset:3584
	ds_store_b128 v85, v[24:27] offset:8192
	;; [unrolled: 1-line block ×7, first 2 shown]
.LBB0_17:
	s_wait_alu 0xfffe
	s_or_b32 exec_lo, exec_lo, s1
	global_wb scope:SCOPE_SE
	s_wait_dscnt 0x0
	s_barrier_signal -1
	s_barrier_wait -1
	global_inv scope:SCOPE_SE
	ds_load_b128 v[4:7], v103
	v_sub_nc_u32_e32 v12, v104, v87
	s_mov_b32 s1, exec_lo
                                        ; implicit-def: $vgpr0_vgpr1
                                        ; implicit-def: $vgpr8_vgpr9
                                        ; implicit-def: $vgpr10_vgpr11
	v_cmpx_ne_u32_e32 0, v84
	s_wait_alu 0xfffe
	s_xor_b32 s1, exec_lo, s1
	s_cbranch_execz .LBB0_19
; %bb.18:
	v_mov_b32_e32 v85, 0
	s_delay_alu instid0(VALU_DEP_1) | instskip(NEXT) | instid1(VALU_DEP_1)
	v_lshlrev_b64_e32 v[0:1], 4, v[84:85]
	v_add_co_u32 v0, s0, s4, v0
	s_wait_alu 0xf1ff
	s_delay_alu instid0(VALU_DEP_2)
	v_add_co_ci_u32_e64 v1, s0, s5, v1, s0
	global_load_b128 v[13:16], v[0:1], off offset:32224
	ds_load_b128 v[0:3], v12 offset:32256
	s_wait_dscnt 0x0
	v_add_f64_e64 v[8:9], v[4:5], -v[0:1]
	v_add_f64_e32 v[10:11], v[6:7], v[2:3]
	v_add_f64_e64 v[2:3], v[6:7], -v[2:3]
	v_add_f64_e32 v[0:1], v[4:5], v[0:1]
	s_delay_alu instid0(VALU_DEP_4) | instskip(NEXT) | instid1(VALU_DEP_4)
	v_mul_f64_e32 v[6:7], 0.5, v[8:9]
	v_mul_f64_e32 v[4:5], 0.5, v[10:11]
	s_delay_alu instid0(VALU_DEP_4) | instskip(SKIP_1) | instid1(VALU_DEP_3)
	v_mul_f64_e32 v[2:3], 0.5, v[2:3]
	s_wait_loadcnt 0x0
	v_mul_f64_e32 v[8:9], v[6:7], v[15:16]
	s_delay_alu instid0(VALU_DEP_2) | instskip(SKIP_1) | instid1(VALU_DEP_3)
	v_fma_f64 v[10:11], v[4:5], v[15:16], v[2:3]
	v_fma_f64 v[2:3], v[4:5], v[15:16], -v[2:3]
	v_fma_f64 v[17:18], v[0:1], 0.5, v[8:9]
	v_fma_f64 v[0:1], v[0:1], 0.5, -v[8:9]
	s_delay_alu instid0(VALU_DEP_4) | instskip(NEXT) | instid1(VALU_DEP_4)
	v_fma_f64 v[10:11], -v[13:14], v[6:7], v[10:11]
	v_fma_f64 v[2:3], -v[13:14], v[6:7], v[2:3]
	s_delay_alu instid0(VALU_DEP_4) | instskip(NEXT) | instid1(VALU_DEP_4)
	v_fma_f64 v[8:9], v[4:5], v[13:14], v[17:18]
	v_fma_f64 v[0:1], -v[4:5], v[13:14], v[0:1]
                                        ; implicit-def: $vgpr4_vgpr5
.LBB0_19:
	s_wait_alu 0xfffe
	s_and_not1_saveexec_b32 s0, s1
	s_cbranch_execz .LBB0_21
; %bb.20:
	s_wait_dscnt 0x0
	v_add_f64_e32 v[8:9], v[4:5], v[6:7]
	v_add_f64_e64 v[0:1], v[4:5], -v[6:7]
	ds_load_b64 v[4:5], v104 offset:16136
	v_mov_b32_e32 v10, 0
	v_mov_b32_e32 v11, 0
	s_delay_alu instid0(VALU_DEP_1)
	v_dual_mov_b32 v2, v10 :: v_dual_mov_b32 v3, v11
	s_wait_dscnt 0x0
	v_xor_b32_e32 v5, 0x80000000, v5
	ds_store_b64 v104, v[4:5] offset:16136
.LBB0_21:
	s_wait_alu 0xfffe
	s_or_b32 exec_lo, exec_lo, s0
	v_mov_b32_e32 v87, 0
	v_lshl_add_u32 v21, v98, 4, v104
	v_lshl_add_u32 v22, v96, 4, v104
	s_wait_dscnt 0x0
	s_delay_alu instid0(VALU_DEP_3) | instskip(SKIP_2) | instid1(VALU_DEP_2)
	v_lshlrev_b64_e32 v[4:5], 4, v[86:87]
	v_mov_b32_e32 v101, v87
	v_mov_b32_e32 v97, v87
	v_lshlrev_b64_e32 v[13:14], 4, v[100:101]
	v_mov_b32_e32 v100, v87
	v_add_co_u32 v4, s0, s4, v4
	s_wait_alu 0xf1ff
	v_add_co_ci_u32_e64 v5, s0, s5, v5, s0
	s_delay_alu instid0(VALU_DEP_4)
	v_add_co_u32 v13, s0, s4, v13
	s_wait_alu 0xf1ff
	v_add_co_ci_u32_e64 v14, s0, s5, v14, s0
	s_clause 0x1
	global_load_b128 v[4:7], v[4:5], off offset:32224
	global_load_b128 v[13:16], v[13:14], off offset:32224
	ds_store_2addr_b64 v103, v[8:9], v[10:11] offset1:1
	ds_store_b128 v12, v[0:3] offset:32256
	ds_load_b128 v[0:3], v95
	ds_load_b128 v[8:11], v12 offset:30464
	s_wait_dscnt 0x0
	v_add_f64_e64 v[17:18], v[0:1], -v[8:9]
	v_add_f64_e32 v[19:20], v[2:3], v[10:11]
	v_add_f64_e64 v[2:3], v[2:3], -v[10:11]
	v_add_f64_e32 v[0:1], v[0:1], v[8:9]
	s_delay_alu instid0(VALU_DEP_4) | instskip(NEXT) | instid1(VALU_DEP_4)
	v_mul_f64_e32 v[10:11], 0.5, v[17:18]
	v_mul_f64_e32 v[17:18], 0.5, v[19:20]
	s_delay_alu instid0(VALU_DEP_4) | instskip(SKIP_1) | instid1(VALU_DEP_3)
	v_mul_f64_e32 v[2:3], 0.5, v[2:3]
	s_wait_loadcnt 0x1
	v_mul_f64_e32 v[8:9], v[10:11], v[6:7]
	s_delay_alu instid0(VALU_DEP_2) | instskip(SKIP_1) | instid1(VALU_DEP_3)
	v_fma_f64 v[19:20], v[17:18], v[6:7], v[2:3]
	v_fma_f64 v[2:3], v[17:18], v[6:7], -v[2:3]
	v_fma_f64 v[6:7], v[0:1], 0.5, v[8:9]
	v_fma_f64 v[0:1], v[0:1], 0.5, -v[8:9]
	s_delay_alu instid0(VALU_DEP_4) | instskip(NEXT) | instid1(VALU_DEP_4)
	v_fma_f64 v[8:9], -v[4:5], v[10:11], v[19:20]
	v_fma_f64 v[2:3], -v[4:5], v[10:11], v[2:3]
	s_delay_alu instid0(VALU_DEP_4) | instskip(NEXT) | instid1(VALU_DEP_4)
	v_fma_f64 v[10:11], v[17:18], v[4:5], v[6:7]
	v_fma_f64 v[0:1], -v[17:18], v[4:5], v[0:1]
	v_lshlrev_b64_e32 v[4:5], 4, v[99:100]
	v_mov_b32_e32 v99, v87
	s_delay_alu instid0(VALU_DEP_2) | instskip(SKIP_1) | instid1(VALU_DEP_3)
	v_add_co_u32 v4, s0, s4, v4
	s_wait_alu 0xf1ff
	v_add_co_ci_u32_e64 v5, s0, s5, v5, s0
	global_load_b128 v[4:7], v[4:5], off offset:32224
	ds_store_2addr_b64 v95, v[10:11], v[8:9] offset1:1
	ds_store_b128 v12, v[0:3] offset:30464
	ds_load_b128 v[0:3], v89
	ds_load_b128 v[8:11], v12 offset:28672
	v_mov_b32_e32 v95, v87
	s_wait_dscnt 0x0
	v_add_f64_e64 v[17:18], v[0:1], -v[8:9]
	v_add_f64_e32 v[19:20], v[2:3], v[10:11]
	v_add_f64_e64 v[2:3], v[2:3], -v[10:11]
	v_add_f64_e32 v[0:1], v[0:1], v[8:9]
	s_delay_alu instid0(VALU_DEP_4) | instskip(NEXT) | instid1(VALU_DEP_4)
	v_mul_f64_e32 v[10:11], 0.5, v[17:18]
	v_mul_f64_e32 v[17:18], 0.5, v[19:20]
	s_delay_alu instid0(VALU_DEP_4) | instskip(SKIP_1) | instid1(VALU_DEP_3)
	v_mul_f64_e32 v[2:3], 0.5, v[2:3]
	s_wait_loadcnt 0x1
	v_mul_f64_e32 v[8:9], v[10:11], v[15:16]
	s_delay_alu instid0(VALU_DEP_2) | instskip(SKIP_1) | instid1(VALU_DEP_3)
	v_fma_f64 v[19:20], v[17:18], v[15:16], v[2:3]
	v_fma_f64 v[2:3], v[17:18], v[15:16], -v[2:3]
	v_fma_f64 v[15:16], v[0:1], 0.5, v[8:9]
	v_fma_f64 v[0:1], v[0:1], 0.5, -v[8:9]
	s_delay_alu instid0(VALU_DEP_4) | instskip(NEXT) | instid1(VALU_DEP_4)
	v_fma_f64 v[19:20], -v[13:14], v[10:11], v[19:20]
	v_fma_f64 v[2:3], -v[13:14], v[10:11], v[2:3]
	v_lshlrev_b64_e32 v[8:9], 4, v[98:99]
	s_delay_alu instid0(VALU_DEP_1) | instskip(SKIP_1) | instid1(VALU_DEP_2)
	v_add_co_u32 v8, s0, s4, v8
	s_wait_alu 0xf1ff
	v_add_co_ci_u32_e64 v9, s0, s5, v9, s0
	global_load_b128 v[8:11], v[8:9], off offset:32224
	v_fma_f64 v[15:16], v[17:18], v[13:14], v[15:16]
	v_fma_f64 v[0:1], -v[17:18], v[13:14], v[0:1]
	ds_store_2addr_b64 v89, v[15:16], v[19:20] offset1:1
	ds_store_b128 v12, v[0:3] offset:28672
	ds_load_b128 v[0:3], v93
	ds_load_b128 v[13:16], v12 offset:26880
	v_mov_b32_e32 v89, v87
	s_wait_dscnt 0x0
	v_add_f64_e64 v[17:18], v[0:1], -v[13:14]
	v_add_f64_e32 v[19:20], v[2:3], v[15:16]
	v_add_f64_e64 v[2:3], v[2:3], -v[15:16]
	v_add_f64_e32 v[0:1], v[0:1], v[13:14]
	s_delay_alu instid0(VALU_DEP_4) | instskip(NEXT) | instid1(VALU_DEP_4)
	v_mul_f64_e32 v[15:16], 0.5, v[17:18]
	v_mul_f64_e32 v[17:18], 0.5, v[19:20]
	s_delay_alu instid0(VALU_DEP_4) | instskip(SKIP_1) | instid1(VALU_DEP_3)
	v_mul_f64_e32 v[2:3], 0.5, v[2:3]
	s_wait_loadcnt 0x1
	v_mul_f64_e32 v[13:14], v[15:16], v[6:7]
	s_delay_alu instid0(VALU_DEP_2) | instskip(SKIP_1) | instid1(VALU_DEP_3)
	v_fma_f64 v[19:20], v[17:18], v[6:7], v[2:3]
	v_fma_f64 v[2:3], v[17:18], v[6:7], -v[2:3]
	v_fma_f64 v[6:7], v[0:1], 0.5, v[13:14]
	v_fma_f64 v[0:1], v[0:1], 0.5, -v[13:14]
	s_delay_alu instid0(VALU_DEP_4) | instskip(NEXT) | instid1(VALU_DEP_4)
	v_fma_f64 v[13:14], -v[4:5], v[15:16], v[19:20]
	v_fma_f64 v[2:3], -v[4:5], v[15:16], v[2:3]
	s_delay_alu instid0(VALU_DEP_4) | instskip(NEXT) | instid1(VALU_DEP_4)
	v_fma_f64 v[15:16], v[17:18], v[4:5], v[6:7]
	v_fma_f64 v[0:1], -v[17:18], v[4:5], v[0:1]
	v_lshlrev_b64_e32 v[4:5], 4, v[96:97]
	s_delay_alu instid0(VALU_DEP_1) | instskip(SKIP_1) | instid1(VALU_DEP_2)
	v_add_co_u32 v4, s0, s4, v4
	s_wait_alu 0xf1ff
	v_add_co_ci_u32_e64 v5, s0, s5, v5, s0
	global_load_b128 v[4:7], v[4:5], off offset:32224
	ds_store_2addr_b64 v93, v[15:16], v[13:14] offset1:1
	ds_store_b128 v12, v[0:3] offset:26880
	ds_load_b128 v[0:3], v21
	ds_load_b128 v[13:16], v12 offset:25088
	v_mov_b32_e32 v93, v87
	s_wait_dscnt 0x0
	v_add_f64_e64 v[17:18], v[0:1], -v[13:14]
	v_add_f64_e32 v[19:20], v[2:3], v[15:16]
	v_add_f64_e64 v[2:3], v[2:3], -v[15:16]
	v_add_f64_e32 v[0:1], v[0:1], v[13:14]
	s_delay_alu instid0(VALU_DEP_4) | instskip(NEXT) | instid1(VALU_DEP_4)
	v_mul_f64_e32 v[15:16], 0.5, v[17:18]
	v_mul_f64_e32 v[17:18], 0.5, v[19:20]
	s_delay_alu instid0(VALU_DEP_4) | instskip(SKIP_1) | instid1(VALU_DEP_3)
	v_mul_f64_e32 v[2:3], 0.5, v[2:3]
	s_wait_loadcnt 0x1
	v_mul_f64_e32 v[13:14], v[15:16], v[10:11]
	s_delay_alu instid0(VALU_DEP_2) | instskip(SKIP_1) | instid1(VALU_DEP_3)
	v_fma_f64 v[19:20], v[17:18], v[10:11], v[2:3]
	v_fma_f64 v[2:3], v[17:18], v[10:11], -v[2:3]
	v_fma_f64 v[10:11], v[0:1], 0.5, v[13:14]
	v_fma_f64 v[0:1], v[0:1], 0.5, -v[13:14]
	s_delay_alu instid0(VALU_DEP_4) | instskip(NEXT) | instid1(VALU_DEP_4)
	v_fma_f64 v[13:14], -v[8:9], v[15:16], v[19:20]
	v_fma_f64 v[2:3], -v[8:9], v[15:16], v[2:3]
	s_delay_alu instid0(VALU_DEP_4) | instskip(NEXT) | instid1(VALU_DEP_4)
	v_fma_f64 v[15:16], v[17:18], v[8:9], v[10:11]
	v_fma_f64 v[0:1], -v[17:18], v[8:9], v[0:1]
	v_lshlrev_b64_e32 v[8:9], 4, v[94:95]
	s_delay_alu instid0(VALU_DEP_1) | instskip(SKIP_1) | instid1(VALU_DEP_2)
	v_add_co_u32 v8, s0, s4, v8
	s_wait_alu 0xf1ff
	v_add_co_ci_u32_e64 v9, s0, s5, v9, s0
	global_load_b128 v[8:11], v[8:9], off offset:32224
	ds_store_2addr_b64 v21, v[15:16], v[13:14] offset1:1
	ds_store_b128 v12, v[0:3] offset:25088
	ds_load_b128 v[0:3], v22
	ds_load_b128 v[13:16], v12 offset:23296
	v_lshl_add_u32 v21, v94, 4, v104
	s_wait_dscnt 0x0
	v_add_f64_e64 v[17:18], v[0:1], -v[13:14]
	v_add_f64_e32 v[19:20], v[2:3], v[15:16]
	v_add_f64_e64 v[2:3], v[2:3], -v[15:16]
	v_add_f64_e32 v[0:1], v[0:1], v[13:14]
	s_delay_alu instid0(VALU_DEP_4) | instskip(NEXT) | instid1(VALU_DEP_4)
	v_mul_f64_e32 v[15:16], 0.5, v[17:18]
	v_mul_f64_e32 v[17:18], 0.5, v[19:20]
	s_delay_alu instid0(VALU_DEP_4) | instskip(SKIP_1) | instid1(VALU_DEP_3)
	v_mul_f64_e32 v[2:3], 0.5, v[2:3]
	s_wait_loadcnt 0x1
	v_mul_f64_e32 v[13:14], v[15:16], v[6:7]
	s_delay_alu instid0(VALU_DEP_2) | instskip(SKIP_1) | instid1(VALU_DEP_3)
	v_fma_f64 v[19:20], v[17:18], v[6:7], v[2:3]
	v_fma_f64 v[2:3], v[17:18], v[6:7], -v[2:3]
	v_fma_f64 v[6:7], v[0:1], 0.5, v[13:14]
	v_fma_f64 v[0:1], v[0:1], 0.5, -v[13:14]
	s_delay_alu instid0(VALU_DEP_4) | instskip(NEXT) | instid1(VALU_DEP_4)
	v_fma_f64 v[13:14], -v[4:5], v[15:16], v[19:20]
	v_fma_f64 v[2:3], -v[4:5], v[15:16], v[2:3]
	s_delay_alu instid0(VALU_DEP_4) | instskip(NEXT) | instid1(VALU_DEP_4)
	v_fma_f64 v[15:16], v[17:18], v[4:5], v[6:7]
	v_fma_f64 v[0:1], -v[17:18], v[4:5], v[0:1]
	v_lshlrev_b64_e32 v[4:5], 4, v[92:93]
	s_delay_alu instid0(VALU_DEP_1) | instskip(SKIP_1) | instid1(VALU_DEP_2)
	v_add_co_u32 v4, s0, s4, v4
	s_wait_alu 0xf1ff
	v_add_co_ci_u32_e64 v5, s0, s5, v5, s0
	global_load_b128 v[4:7], v[4:5], off offset:32224
	ds_store_2addr_b64 v22, v[15:16], v[13:14] offset1:1
	ds_store_b128 v12, v[0:3] offset:23296
	ds_load_b128 v[0:3], v21
	ds_load_b128 v[13:16], v12 offset:21504
	v_lshl_add_u32 v22, v92, 4, v104
	s_wait_dscnt 0x0
	v_add_f64_e64 v[17:18], v[0:1], -v[13:14]
	v_add_f64_e32 v[19:20], v[2:3], v[15:16]
	v_add_f64_e64 v[2:3], v[2:3], -v[15:16]
	v_add_f64_e32 v[0:1], v[0:1], v[13:14]
	s_delay_alu instid0(VALU_DEP_4) | instskip(NEXT) | instid1(VALU_DEP_4)
	v_mul_f64_e32 v[15:16], 0.5, v[17:18]
	v_mul_f64_e32 v[17:18], 0.5, v[19:20]
	s_delay_alu instid0(VALU_DEP_4) | instskip(SKIP_1) | instid1(VALU_DEP_3)
	v_mul_f64_e32 v[2:3], 0.5, v[2:3]
	s_wait_loadcnt 0x1
	v_mul_f64_e32 v[13:14], v[15:16], v[10:11]
	s_delay_alu instid0(VALU_DEP_2) | instskip(SKIP_1) | instid1(VALU_DEP_3)
	v_fma_f64 v[19:20], v[17:18], v[10:11], v[2:3]
	v_fma_f64 v[2:3], v[17:18], v[10:11], -v[2:3]
	v_fma_f64 v[10:11], v[0:1], 0.5, v[13:14]
	v_fma_f64 v[0:1], v[0:1], 0.5, -v[13:14]
	s_delay_alu instid0(VALU_DEP_4) | instskip(NEXT) | instid1(VALU_DEP_4)
	v_fma_f64 v[13:14], -v[8:9], v[15:16], v[19:20]
	v_fma_f64 v[2:3], -v[8:9], v[15:16], v[2:3]
	s_delay_alu instid0(VALU_DEP_4) | instskip(NEXT) | instid1(VALU_DEP_4)
	v_fma_f64 v[15:16], v[17:18], v[8:9], v[10:11]
	v_fma_f64 v[0:1], -v[17:18], v[8:9], v[0:1]
	v_lshlrev_b64_e32 v[8:9], 4, v[88:89]
	s_delay_alu instid0(VALU_DEP_1) | instskip(SKIP_1) | instid1(VALU_DEP_2)
	v_add_co_u32 v8, s0, s4, v8
	s_wait_alu 0xf1ff
	v_add_co_ci_u32_e64 v9, s0, s5, v9, s0
	global_load_b128 v[8:11], v[8:9], off offset:32224
	ds_store_2addr_b64 v21, v[15:16], v[13:14] offset1:1
	ds_store_b128 v12, v[0:3] offset:21504
	ds_load_b128 v[0:3], v22
	ds_load_b128 v[13:16], v12 offset:19712
	s_wait_dscnt 0x0
	v_add_f64_e64 v[17:18], v[0:1], -v[13:14]
	v_add_f64_e32 v[19:20], v[2:3], v[15:16]
	v_add_f64_e64 v[2:3], v[2:3], -v[15:16]
	v_add_f64_e32 v[0:1], v[0:1], v[13:14]
	s_delay_alu instid0(VALU_DEP_4) | instskip(NEXT) | instid1(VALU_DEP_4)
	v_mul_f64_e32 v[15:16], 0.5, v[17:18]
	v_mul_f64_e32 v[17:18], 0.5, v[19:20]
	s_delay_alu instid0(VALU_DEP_4) | instskip(SKIP_1) | instid1(VALU_DEP_3)
	v_mul_f64_e32 v[2:3], 0.5, v[2:3]
	s_wait_loadcnt 0x1
	v_mul_f64_e32 v[13:14], v[15:16], v[6:7]
	s_delay_alu instid0(VALU_DEP_2) | instskip(SKIP_1) | instid1(VALU_DEP_3)
	v_fma_f64 v[19:20], v[17:18], v[6:7], v[2:3]
	v_fma_f64 v[2:3], v[17:18], v[6:7], -v[2:3]
	v_fma_f64 v[6:7], v[0:1], 0.5, v[13:14]
	v_fma_f64 v[0:1], v[0:1], 0.5, -v[13:14]
	s_delay_alu instid0(VALU_DEP_4) | instskip(NEXT) | instid1(VALU_DEP_4)
	v_fma_f64 v[13:14], -v[4:5], v[15:16], v[19:20]
	v_fma_f64 v[2:3], -v[4:5], v[15:16], v[2:3]
	s_delay_alu instid0(VALU_DEP_4) | instskip(NEXT) | instid1(VALU_DEP_4)
	v_fma_f64 v[6:7], v[17:18], v[4:5], v[6:7]
	v_fma_f64 v[0:1], -v[17:18], v[4:5], v[0:1]
	v_lshl_add_u32 v17, v88, 4, v104
	ds_store_2addr_b64 v22, v[6:7], v[13:14] offset1:1
	ds_store_b128 v12, v[0:3] offset:19712
	ds_load_b128 v[0:3], v17
	ds_load_b128 v[4:7], v12 offset:17920
	s_wait_dscnt 0x0
	v_add_f64_e64 v[13:14], v[0:1], -v[4:5]
	v_add_f64_e32 v[15:16], v[2:3], v[6:7]
	v_add_f64_e64 v[2:3], v[2:3], -v[6:7]
	v_add_f64_e32 v[0:1], v[0:1], v[4:5]
	s_delay_alu instid0(VALU_DEP_4) | instskip(NEXT) | instid1(VALU_DEP_4)
	v_mul_f64_e32 v[6:7], 0.5, v[13:14]
	v_mul_f64_e32 v[13:14], 0.5, v[15:16]
	s_delay_alu instid0(VALU_DEP_4) | instskip(SKIP_1) | instid1(VALU_DEP_3)
	v_mul_f64_e32 v[2:3], 0.5, v[2:3]
	s_wait_loadcnt 0x0
	v_mul_f64_e32 v[4:5], v[6:7], v[10:11]
	s_delay_alu instid0(VALU_DEP_2) | instskip(SKIP_1) | instid1(VALU_DEP_3)
	v_fma_f64 v[15:16], v[13:14], v[10:11], v[2:3]
	v_fma_f64 v[2:3], v[13:14], v[10:11], -v[2:3]
	v_fma_f64 v[10:11], v[0:1], 0.5, v[4:5]
	v_fma_f64 v[0:1], v[0:1], 0.5, -v[4:5]
	s_delay_alu instid0(VALU_DEP_4) | instskip(NEXT) | instid1(VALU_DEP_4)
	v_fma_f64 v[4:5], -v[8:9], v[6:7], v[15:16]
	v_fma_f64 v[2:3], -v[8:9], v[6:7], v[2:3]
	s_delay_alu instid0(VALU_DEP_4) | instskip(NEXT) | instid1(VALU_DEP_4)
	v_fma_f64 v[6:7], v[13:14], v[8:9], v[10:11]
	v_fma_f64 v[0:1], -v[13:14], v[8:9], v[0:1]
	ds_store_2addr_b64 v17, v[6:7], v[4:5] offset1:1
	ds_store_b128 v12, v[0:3] offset:17920
	global_wb scope:SCOPE_SE
	s_wait_dscnt 0x0
	s_barrier_signal -1
	s_barrier_wait -1
	global_inv scope:SCOPE_SE
	s_and_saveexec_b32 s0, vcc_lo
	s_cbranch_execz .LBB0_24
; %bb.22:
	v_mov_b32_e32 v85, v87
	v_add_co_u32 v0, vcc_lo, s8, v90
	s_wait_alu 0xfffd
	v_add_co_ci_u32_e32 v1, vcc_lo, s9, v91, vcc_lo
	s_delay_alu instid0(VALU_DEP_3)
	v_lshlrev_b64_e32 v[58:59], 4, v[84:85]
	ds_load_b128 v[2:5], v103
	ds_load_b128 v[6:9], v103 offset:1792
	ds_load_b128 v[10:13], v103 offset:3584
	;; [unrolled: 1-line block ×13, first 2 shown]
	v_add_co_u32 v74, vcc_lo, v0, v58
	s_wait_alu 0xfffd
	v_add_co_ci_u32_e32 v75, vcc_lo, v1, v59, vcc_lo
	ds_load_b128 v[58:61], v103 offset:25088
	ds_load_b128 v[62:65], v103 offset:26880
	;; [unrolled: 1-line block ×4, first 2 shown]
	v_cmp_eq_u32_e32 vcc_lo, 0x6f, v84
	s_wait_dscnt 0x11
	global_store_b128 v[74:75], v[2:5], off
	s_wait_dscnt 0x10
	global_store_b128 v[74:75], v[6:9], off offset:1792
	s_wait_dscnt 0xf
	global_store_b128 v[74:75], v[10:13], off offset:3584
	;; [unrolled: 2-line block ×17, first 2 shown]
	s_and_b32 exec_lo, exec_lo, vcc_lo
	s_cbranch_execz .LBB0_24
; %bb.23:
	ds_load_b128 v[2:5], v103 offset:30480
	s_wait_dscnt 0x0
	global_store_b128 v[0:1], v[2:5], off offset:32256
.LBB0_24:
	s_nop 0
	s_sendmsg sendmsg(MSG_DEALLOC_VGPRS)
	s_endpgm
	.section	.rodata,"a",@progbits
	.p2align	6, 0x0
	.amdhsa_kernel fft_rtc_fwd_len2016_factors_2_2_2_2_2_3_3_7_wgs_224_tpt_112_halfLds_dp_ip_CI_unitstride_sbrr_R2C_dirReg
		.amdhsa_group_segment_fixed_size 0
		.amdhsa_private_segment_fixed_size 0
		.amdhsa_kernarg_size 88
		.amdhsa_user_sgpr_count 2
		.amdhsa_user_sgpr_dispatch_ptr 0
		.amdhsa_user_sgpr_queue_ptr 0
		.amdhsa_user_sgpr_kernarg_segment_ptr 1
		.amdhsa_user_sgpr_dispatch_id 0
		.amdhsa_user_sgpr_private_segment_size 0
		.amdhsa_wavefront_size32 1
		.amdhsa_uses_dynamic_stack 0
		.amdhsa_enable_private_segment 0
		.amdhsa_system_sgpr_workgroup_id_x 1
		.amdhsa_system_sgpr_workgroup_id_y 0
		.amdhsa_system_sgpr_workgroup_id_z 0
		.amdhsa_system_sgpr_workgroup_info 0
		.amdhsa_system_vgpr_workitem_id 0
		.amdhsa_next_free_vgpr 171
		.amdhsa_next_free_sgpr 32
		.amdhsa_reserve_vcc 1
		.amdhsa_float_round_mode_32 0
		.amdhsa_float_round_mode_16_64 0
		.amdhsa_float_denorm_mode_32 3
		.amdhsa_float_denorm_mode_16_64 3
		.amdhsa_fp16_overflow 0
		.amdhsa_workgroup_processor_mode 1
		.amdhsa_memory_ordered 1
		.amdhsa_forward_progress 0
		.amdhsa_round_robin_scheduling 0
		.amdhsa_exception_fp_ieee_invalid_op 0
		.amdhsa_exception_fp_denorm_src 0
		.amdhsa_exception_fp_ieee_div_zero 0
		.amdhsa_exception_fp_ieee_overflow 0
		.amdhsa_exception_fp_ieee_underflow 0
		.amdhsa_exception_fp_ieee_inexact 0
		.amdhsa_exception_int_div_zero 0
	.end_amdhsa_kernel
	.text
.Lfunc_end0:
	.size	fft_rtc_fwd_len2016_factors_2_2_2_2_2_3_3_7_wgs_224_tpt_112_halfLds_dp_ip_CI_unitstride_sbrr_R2C_dirReg, .Lfunc_end0-fft_rtc_fwd_len2016_factors_2_2_2_2_2_3_3_7_wgs_224_tpt_112_halfLds_dp_ip_CI_unitstride_sbrr_R2C_dirReg
                                        ; -- End function
	.section	.AMDGPU.csdata,"",@progbits
; Kernel info:
; codeLenInByte = 16264
; NumSgprs: 34
; NumVgprs: 171
; ScratchSize: 0
; MemoryBound: 0
; FloatMode: 240
; IeeeMode: 1
; LDSByteSize: 0 bytes/workgroup (compile time only)
; SGPRBlocks: 4
; VGPRBlocks: 21
; NumSGPRsForWavesPerEU: 34
; NumVGPRsForWavesPerEU: 171
; Occupancy: 8
; WaveLimiterHint : 1
; COMPUTE_PGM_RSRC2:SCRATCH_EN: 0
; COMPUTE_PGM_RSRC2:USER_SGPR: 2
; COMPUTE_PGM_RSRC2:TRAP_HANDLER: 0
; COMPUTE_PGM_RSRC2:TGID_X_EN: 1
; COMPUTE_PGM_RSRC2:TGID_Y_EN: 0
; COMPUTE_PGM_RSRC2:TGID_Z_EN: 0
; COMPUTE_PGM_RSRC2:TIDIG_COMP_CNT: 0
	.text
	.p2alignl 7, 3214868480
	.fill 96, 4, 3214868480
	.type	__hip_cuid_65cc06f4782065de,@object ; @__hip_cuid_65cc06f4782065de
	.section	.bss,"aw",@nobits
	.globl	__hip_cuid_65cc06f4782065de
__hip_cuid_65cc06f4782065de:
	.byte	0                               ; 0x0
	.size	__hip_cuid_65cc06f4782065de, 1

	.ident	"AMD clang version 19.0.0git (https://github.com/RadeonOpenCompute/llvm-project roc-6.4.0 25133 c7fe45cf4b819c5991fe208aaa96edf142730f1d)"
	.section	".note.GNU-stack","",@progbits
	.addrsig
	.addrsig_sym __hip_cuid_65cc06f4782065de
	.amdgpu_metadata
---
amdhsa.kernels:
  - .args:
      - .actual_access:  read_only
        .address_space:  global
        .offset:         0
        .size:           8
        .value_kind:     global_buffer
      - .offset:         8
        .size:           8
        .value_kind:     by_value
      - .actual_access:  read_only
        .address_space:  global
        .offset:         16
        .size:           8
        .value_kind:     global_buffer
      - .actual_access:  read_only
        .address_space:  global
        .offset:         24
        .size:           8
        .value_kind:     global_buffer
      - .offset:         32
        .size:           8
        .value_kind:     by_value
      - .actual_access:  read_only
        .address_space:  global
        .offset:         40
        .size:           8
        .value_kind:     global_buffer
      - .actual_access:  read_only
        .address_space:  global
        .offset:         48
        .size:           8
        .value_kind:     global_buffer
      - .offset:         56
        .size:           4
        .value_kind:     by_value
      - .actual_access:  read_only
        .address_space:  global
        .offset:         64
        .size:           8
        .value_kind:     global_buffer
      - .actual_access:  read_only
        .address_space:  global
        .offset:         72
        .size:           8
        .value_kind:     global_buffer
      - .address_space:  global
        .offset:         80
        .size:           8
        .value_kind:     global_buffer
    .group_segment_fixed_size: 0
    .kernarg_segment_align: 8
    .kernarg_segment_size: 88
    .language:       OpenCL C
    .language_version:
      - 2
      - 0
    .max_flat_workgroup_size: 224
    .name:           fft_rtc_fwd_len2016_factors_2_2_2_2_2_3_3_7_wgs_224_tpt_112_halfLds_dp_ip_CI_unitstride_sbrr_R2C_dirReg
    .private_segment_fixed_size: 0
    .sgpr_count:     34
    .sgpr_spill_count: 0
    .symbol:         fft_rtc_fwd_len2016_factors_2_2_2_2_2_3_3_7_wgs_224_tpt_112_halfLds_dp_ip_CI_unitstride_sbrr_R2C_dirReg.kd
    .uniform_work_group_size: 1
    .uses_dynamic_stack: false
    .vgpr_count:     171
    .vgpr_spill_count: 0
    .wavefront_size: 32
    .workgroup_processor_mode: 1
amdhsa.target:   amdgcn-amd-amdhsa--gfx1201
amdhsa.version:
  - 1
  - 2
...

	.end_amdgpu_metadata
